;; amdgpu-corpus repo=ROCm/rocFFT kind=compiled arch=gfx950 opt=O3
	.text
	.amdgcn_target "amdgcn-amd-amdhsa--gfx950"
	.amdhsa_code_object_version 6
	.protected	bluestein_single_back_len2002_dim1_dp_op_CI_CI ; -- Begin function bluestein_single_back_len2002_dim1_dp_op_CI_CI
	.globl	bluestein_single_back_len2002_dim1_dp_op_CI_CI
	.p2align	8
	.type	bluestein_single_back_len2002_dim1_dp_op_CI_CI,@function
bluestein_single_back_len2002_dim1_dp_op_CI_CI: ; @bluestein_single_back_len2002_dim1_dp_op_CI_CI
; %bb.0:
	s_load_dwordx4 s[8:11], s[0:1], 0x28
	v_mul_u32_u24_e32 v1, 0x169, v0
	v_mov_b32_e32 v39, 0
	v_add_u32_sdwa v6, s2, v1 dst_sel:DWORD dst_unused:UNUSED_PAD src0_sel:DWORD src1_sel:WORD_1
	v_mov_b32_e32 v7, v39
	s_waitcnt lgkmcnt(0)
	v_cmp_gt_u64_e32 vcc, s[8:9], v[6:7]
	s_and_saveexec_b64 s[2:3], vcc
	s_cbranch_execz .LBB0_31
; %bb.1:
	s_load_dwordx4 s[4:7], s[0:1], 0x18
	s_load_dwordx2 s[14:15], s[0:1], 0x0
	v_mov_b32_e32 v2, s10
	v_mov_b32_e32 v3, s11
	s_movk_i32 s2, 0xb6
	s_waitcnt lgkmcnt(0)
	s_load_dwordx4 s[8:11], s[4:5], 0x0
	v_mul_lo_u16_sdwa v1, v1, s2 dst_sel:DWORD dst_unused:UNUSED_PAD src0_sel:WORD_1 src1_sel:DWORD
	v_sub_u16_e32 v38, v0, v1
	v_accvgpr_write_b32 a32, v6
	v_lshlrev_b32_e32 v236, 4, v38
	s_waitcnt lgkmcnt(0)
	v_mad_u64_u32 v[0:1], s[2:3], s10, v6, 0
	v_mov_b32_e32 v4, v1
	v_mad_u64_u32 v[4:5], s[2:3], s11, v6, v[4:5]
	v_mov_b32_e32 v1, v4
	v_mad_u64_u32 v[4:5], s[2:3], s8, v38, 0
	v_mov_b32_e32 v6, v5
	v_mad_u64_u32 v[6:7], s[2:3], s9, v38, v[6:7]
	s_mul_i32 s2, s9, 0x3e9
	s_mul_hi_u32 s3, s8, 0x3e9
	v_mov_b32_e32 v5, v6
	v_lshl_add_u64 v[0:1], v[0:1], 4, v[2:3]
	v_mov_b32_e32 v237, v39
	s_add_i32 s3, s3, s2
	s_mul_i32 s2, s8, 0x3e9
	v_lshl_add_u64 v[0:1], v[4:5], 4, v[0:1]
	v_lshl_add_u64 v[26:27], s[14:15], 0, v[236:237]
	s_lshl_b64 s[10:11], s[2:3], 4
	s_movk_i32 s4, 0x3000
	s_mul_hi_u32 s5, s8, 0xfffffccd
	v_lshl_add_u64 v[2:3], v[0:1], 0, s[10:11]
	global_load_dwordx4 v[44:47], v[0:1], off
	global_load_dwordx4 v[40:43], v[2:3], off
	v_add_co_u32_e32 v0, vcc, s4, v26
	s_mul_i32 s4, s9, 0xfffffccd
	s_sub_i32 s5, s5, s8
	v_addc_co_u32_e32 v1, vcc, 0, v27, vcc
	s_add_i32 s5, s5, s4
	s_mul_i32 s4, s8, 0xfffffccd
	global_load_dwordx4 v[48:51], v[0:1], off offset:3728
	s_lshl_b64 s[8:9], s[4:5], 4
	global_load_dwordx4 v[84:87], v236, s[14:15]
	global_load_dwordx4 v[52:55], v236, s[14:15] offset:2912
	v_lshl_add_u64 v[0:1], v[2:3], 0, s[8:9]
	s_movk_i32 s12, 0x4000
	v_lshl_add_u64 v[10:11], v[0:1], 0, s[10:11]
	global_load_dwordx4 v[2:5], v[0:1], off
	global_load_dwordx4 v[6:9], v[10:11], off
	v_add_co_u32_e32 v0, vcc, s12, v26
	s_movk_i32 s12, 0x1000
	s_nop 0
	v_addc_co_u32_e32 v1, vcc, 0, v27, vcc
	v_add_co_u32_e32 v14, vcc, s12, v26
	global_load_dwordx4 v[56:59], v[0:1], off offset:2544
	s_nop 0
	v_addc_co_u32_e32 v15, vcc, 0, v27, vcc
	global_load_dwordx4 v[60:63], v[14:15], off offset:1728
	v_lshl_add_u64 v[0:1], v[10:11], 0, s[8:9]
	s_movk_i32 s12, 0x5000
	global_load_dwordx4 v[10:13], v[0:1], off
	v_add_co_u32_e32 v18, vcc, s12, v26
	v_lshl_add_u64 v[0:1], v[0:1], 0, s[10:11]
	s_nop 0
	v_addc_co_u32_e32 v19, vcc, 0, v27, vcc
	s_movk_i32 s12, 0x2000
	global_load_dwordx4 v[14:17], v[0:1], off
	global_load_dwordx4 v[64:67], v[18:19], off offset:1360
	v_add_co_u32_e32 v30, vcc, s12, v26
	v_lshl_add_u64 v[0:1], v[0:1], 0, s[8:9]
	s_nop 0
	v_addc_co_u32_e32 v31, vcc, 0, v27, vcc
	global_load_dwordx4 v[68:71], v[30:31], off offset:544
	s_movk_i32 s12, 0x6000
	global_load_dwordx4 v[18:21], v[0:1], off
	v_add_co_u32_e32 v34, vcc, s12, v26
	v_lshl_add_u64 v[0:1], v[0:1], 0, s[10:11]
	s_nop 0
	v_addc_co_u32_e32 v35, vcc, 0, v27, vcc
	global_load_dwordx4 v[22:25], v[0:1], off
	global_load_dwordx4 v[72:75], v[34:35], off offset:176
	v_accvgpr_write_b32 a0, v26
	v_lshl_add_u64 v[0:1], v[0:1], 0, s[8:9]
	v_accvgpr_write_b32 a1, v27
	global_load_dwordx4 v[26:29], v[0:1], off
	global_load_dwordx4 v[76:79], v[30:31], off offset:3456
	v_lshl_add_u64 v[0:1], v[0:1], 0, s[10:11]
	global_load_dwordx4 v[30:33], v[0:1], off
	global_load_dwordx4 v[80:83], v[34:35], off offset:3088
	s_load_dwordx2 s[12:13], s[0:1], 0x38
	s_load_dwordx4 s[8:11], s[6:7], 0x0
	s_movk_i32 s6, 0x5b
	v_cmp_gt_u16_e64 s[6:7], s6, v38
	s_waitcnt vmcnt(17)
	v_accvgpr_write_b32 a2, v48
	s_waitcnt vmcnt(16)
	v_mul_f64 v[34:35], v[46:47], v[86:87]
	v_mul_f64 v[36:37], v[44:45], v[86:87]
	v_fmac_f64_e32 v[34:35], v[44:45], v[84:85]
	v_fma_f64 v[36:37], v[46:47], v[84:85], -v[36:37]
	ds_write_b128 v236, v[34:37]
	v_mul_f64 v[34:35], v[42:43], v[50:51]
	v_mul_f64 v[36:37], v[40:41], v[50:51]
	v_fmac_f64_e32 v[34:35], v[40:41], v[48:49]
	v_fma_f64 v[36:37], v[42:43], v[48:49], -v[36:37]
	ds_write_b128 v236, v[34:37] offset:16016
	s_waitcnt vmcnt(14)
	v_mul_f64 v[34:35], v[4:5], v[54:55]
	v_fmac_f64_e32 v[34:35], v[2:3], v[52:53]
	v_mul_f64 v[2:3], v[2:3], v[54:55]
	v_fma_f64 v[36:37], v[4:5], v[52:53], -v[2:3]
	s_waitcnt vmcnt(12)
	v_mul_f64 v[2:3], v[8:9], v[58:59]
	v_mul_f64 v[4:5], v[6:7], v[58:59]
	v_fmac_f64_e32 v[2:3], v[6:7], v[56:57]
	v_fma_f64 v[4:5], v[8:9], v[56:57], -v[4:5]
	ds_write_b128 v236, v[2:5] offset:18928
	s_waitcnt vmcnt(10)
	v_mul_f64 v[2:3], v[12:13], v[62:63]
	v_mul_f64 v[4:5], v[10:11], v[62:63]
	v_fmac_f64_e32 v[2:3], v[10:11], v[60:61]
	v_fma_f64 v[4:5], v[12:13], v[60:61], -v[4:5]
	ds_write_b128 v236, v[2:5] offset:5824
	v_accvgpr_write_b32 a42, v84
	v_accvgpr_write_b32 a6, v52
	;; [unrolled: 1-line block ×3, first 2 shown]
	s_waitcnt vmcnt(8)
	v_mul_f64 v[2:3], v[16:17], v[66:67]
	v_mul_f64 v[4:5], v[14:15], v[66:67]
	v_fmac_f64_e32 v[2:3], v[14:15], v[64:65]
	v_fma_f64 v[4:5], v[16:17], v[64:65], -v[4:5]
	ds_write_b128 v236, v[2:5] offset:21840
	v_accvgpr_write_b32 a16, v60
	v_accvgpr_write_b32 a20, v64
	s_waitcnt vmcnt(7)
	v_accvgpr_write_b32 a24, v68
	s_waitcnt vmcnt(6)
	v_mul_f64 v[2:3], v[20:21], v[70:71]
	v_mul_f64 v[4:5], v[18:19], v[70:71]
	v_fmac_f64_e32 v[2:3], v[18:19], v[68:69]
	v_fma_f64 v[4:5], v[20:21], v[68:69], -v[4:5]
	ds_write_b128 v236, v[2:5] offset:8736
	v_accvgpr_write_b32 a43, v85
	v_accvgpr_write_b32 a44, v86
	s_waitcnt vmcnt(4)
	v_mul_f64 v[2:3], v[24:25], v[74:75]
	v_mul_f64 v[4:5], v[22:23], v[74:75]
	v_fmac_f64_e32 v[2:3], v[22:23], v[72:73]
	v_fma_f64 v[4:5], v[24:25], v[72:73], -v[4:5]
	ds_write_b128 v236, v[2:5] offset:24752
	s_waitcnt vmcnt(2)
	v_mul_f64 v[2:3], v[28:29], v[78:79]
	v_mul_f64 v[4:5], v[26:27], v[78:79]
	v_fmac_f64_e32 v[2:3], v[26:27], v[76:77]
	v_fma_f64 v[4:5], v[28:29], v[76:77], -v[4:5]
	v_accvgpr_write_b32 a28, v72
	v_accvgpr_write_b32 a34, v76
	ds_write_b128 v236, v[2:5] offset:11648
	s_waitcnt vmcnt(0)
	v_mul_f64 v[2:3], v[32:33], v[82:83]
	v_mul_f64 v[4:5], v[30:31], v[82:83]
	v_accvgpr_write_b32 a38, v80
	v_accvgpr_write_b32 a45, v87
	;; [unrolled: 1-line block ×26, first 2 shown]
	v_fmac_f64_e32 v[2:3], v[30:31], v[80:81]
	v_accvgpr_write_b32 a39, v81
	v_accvgpr_write_b32 a40, v82
	;; [unrolled: 1-line block ×3, first 2 shown]
	v_fma_f64 v[4:5], v[32:33], v[80:81], -v[4:5]
	ds_write_b128 v236, v[34:37] offset:2912
	ds_write_b128 v236, v[2:5] offset:27664
	s_and_saveexec_b64 s[16:17], s[6:7]
	s_cbranch_execz .LBB0_3
; %bb.2:
	v_accvgpr_read_b32 v13, a1
	v_accvgpr_read_b32 v12, a0
	v_lshl_add_u64 v[8:9], s[4:5], 4, v[0:1]
	v_add_co_u32_e32 v4, vcc, 0x3000, v12
	global_load_dwordx4 v[0:3], v[8:9], off
	s_nop 0
	v_addc_co_u32_e32 v5, vcc, 0, v13, vcc
	v_lshl_add_u64 v[8:9], s[2:3], 4, v[8:9]
	s_movk_i32 s2, 0x7000
	v_add_co_u32_e32 v12, vcc, s2, v12
	global_load_dwordx4 v[4:7], v[4:5], off offset:2272
	s_nop 0
	v_addc_co_u32_e32 v13, vcc, 0, v13, vcc
	global_load_dwordx4 v[8:11], v[8:9], off
	s_waitcnt vmcnt(1)
	v_mul_f64 v[16:17], v[2:3], v[6:7]
	global_load_dwordx4 v[12:15], v[12:13], off offset:1904
	v_mul_f64 v[18:19], v[0:1], v[6:7]
	v_fmac_f64_e32 v[16:17], v[0:1], v[4:5]
	v_fma_f64 v[18:19], v[2:3], v[4:5], -v[18:19]
	s_waitcnt vmcnt(0)
	v_mul_f64 v[6:7], v[10:11], v[14:15]
	v_mul_f64 v[14:15], v[8:9], v[14:15]
	v_fmac_f64_e32 v[6:7], v[8:9], v[12:13]
	v_fma_f64 v[8:9], v[10:11], v[12:13], -v[14:15]
	ds_write_b128 v236, v[16:19] offset:14560
	ds_write_b128 v236, v[6:9] offset:30576
.LBB0_3:
	s_or_b64 exec, exec, s[16:17]
	s_waitcnt lgkmcnt(0)
	s_barrier
	ds_read_b128 v[80:83], v236
	ds_read_b128 v[72:75], v236 offset:2912
	ds_read_b128 v[76:79], v236 offset:18928
	;; [unrolled: 1-line block ×9, first 2 shown]
                                        ; implicit-def: $vgpr40_vgpr41
                                        ; implicit-def: $vgpr56_vgpr57
	s_and_saveexec_b64 s[2:3], s[6:7]
	s_cbranch_execz .LBB0_5
; %bb.4:
	ds_read_b128 v[40:43], v236 offset:14560
	ds_read_b128 v[56:59], v236 offset:30576
.LBB0_5:
	s_or_b64 exec, exec, s[2:3]
	s_mov_b64 s[2:3], 0xb6
	v_lshl_add_u64 v[4:5], v[38:39], 0, s[2:3]
	s_mov_b64 s[2:3], 0x38e
	s_load_dwordx2 s[0:1], s[0:1], 0x8
	v_lshl_add_u64 v[0:1], v[38:39], 0, s[2:3]
	s_waitcnt lgkmcnt(0)
	v_add_f64 v[92:93], v[80:81], -v[84:85]
	v_add_f64 v[94:95], v[82:83], -v[86:87]
	v_lshlrev_b16_e32 v1, 1, v38
	v_fma_f64 v[88:89], v[80:81], 2.0, -v[92:93]
	v_fma_f64 v[90:91], v[82:83], 2.0, -v[94:95]
	v_lshlrev_b32_e32 v1, 4, v1
	v_lshlrev_b32_e32 v2, 5, v38
	v_add_f64 v[100:101], v[72:73], -v[76:77]
	v_add_f64 v[102:103], v[74:75], -v[78:79]
	;; [unrolled: 1-line block ×10, first 2 shown]
	s_barrier
	ds_write_b128 v1, v[88:91]
	v_accvgpr_write_b32 a47, v1
	ds_write_b128 v1, v[92:95] offset:16
	v_lshlrev_b32_e32 v1, 5, v4
	v_lshlrev_b32_e32 v0, 5, v0
	v_fma_f64 v[96:97], v[72:73], 2.0, -v[100:101]
	v_fma_f64 v[98:99], v[74:75], 2.0, -v[102:103]
	;; [unrolled: 1-line block ×10, first 2 shown]
	v_accvgpr_write_b32 a50, v4
	v_accvgpr_write_b32 a48, v1
	;; [unrolled: 1-line block ×4, first 2 shown]
	ds_write_b128 v1, v[96:99]
	ds_write_b128 v1, v[100:103] offset:16
	ds_write_b128 v2, v[104:107] offset:11648
	;; [unrolled: 1-line block ×7, first 2 shown]
	s_and_saveexec_b64 s[2:3], s[6:7]
	s_cbranch_execz .LBB0_7
; %bb.6:
	v_accvgpr_read_b32 v0, a33
	ds_write_b128 v0, v[128:131]
	ds_write_b128 v0, v[132:135] offset:16
.LBB0_7:
	s_or_b64 exec, exec, s[2:3]
	s_movk_i32 s2, 0x9a
	v_cmp_gt_u16_e64 s[2:3], s2, v38
	s_waitcnt lgkmcnt(0)
	s_barrier
	s_waitcnt lgkmcnt(0)
                                        ; implicit-def: $vgpr136_vgpr137
	s_and_saveexec_b64 s[4:5], s[2:3]
	s_cbranch_execz .LBB0_9
; %bb.8:
	ds_read_b128 v[88:91], v236
	ds_read_b128 v[92:95], v236 offset:2464
	ds_read_b128 v[96:99], v236 offset:4928
	;; [unrolled: 1-line block ×12, first 2 shown]
.LBB0_9:
	s_or_b64 exec, exec, s[4:5]
	v_and_b32_e32 v0, 1, v38
	v_accvgpr_write_b32 a11, v0
	v_mul_u32_u24_e32 v0, 12, v0
	v_lshlrev_b32_e32 v0, 4, v0
	global_load_dwordx4 v[52:55], v0, s[0:1]
	global_load_dwordx4 v[48:51], v0, s[0:1] offset:16
	global_load_dwordx4 v[44:47], v0, s[0:1] offset:32
	;; [unrolled: 1-line block ×11, first 2 shown]
	s_mov_b32 s21, 0xbfddbe06
	s_mov_b32 s20, 0x4267c47c
	;; [unrolled: 1-line block ×30, first 2 shown]
	v_mov_b32_e32 v200, v38
	v_accvgpr_write_b32 a10, v200
	s_waitcnt lgkmcnt(0)
	s_barrier
	s_waitcnt vmcnt(11)
	v_mul_f64 v[0:1], v[94:95], v[54:55]
	v_mul_f64 v[152:153], v[92:93], v[54:55]
	s_waitcnt vmcnt(9)
	v_mul_f64 v[4:5], v[102:103], v[46:47]
	s_waitcnt vmcnt(8)
	v_mul_f64 v[6:7], v[106:107], v[42:43]
	v_mul_f64 v[2:3], v[98:99], v[50:51]
	;; [unrolled: 1-line block ×3, first 2 shown]
	s_waitcnt vmcnt(5)
	v_mul_f64 v[12:13], v[118:119], v[62:63]
	s_waitcnt vmcnt(4)
	v_mul_f64 v[14:15], v[122:123], v[58:59]
	v_fma_f64 v[0:1], v[92:93], v[52:53], -v[0:1]
	v_fmac_f64_e32 v[152:153], v[94:95], v[52:53]
	s_waitcnt vmcnt(1)
	v_mul_f64 v[20:21], v[134:135], v[78:79]
	s_waitcnt vmcnt(0)
	v_mul_f64 v[22:23], v[138:139], v[74:75]
	v_mul_f64 v[178:179], v[136:137], v[74:75]
	v_mul_f64 v[174:175], v[132:133], v[78:79]
	v_fma_f64 v[24:25], v[100:101], v[44:45], -v[4:5]
	v_fma_f64 v[26:27], v[104:105], v[40:41], -v[6:7]
	v_fma_f64 v[4:5], v[132:133], v[76:77], -v[20:21]
	v_fma_f64 v[6:7], v[136:137], v[72:73], -v[22:23]
	v_fmac_f64_e32 v[178:179], v[138:139], v[72:73]
	v_fma_f64 v[2:3], v[96:97], v[48:49], -v[2:3]
	v_fmac_f64_e32 v[154:155], v[98:99], v[48:49]
	v_fma_f64 v[28:29], v[116:117], v[60:61], -v[12:13]
	v_fma_f64 v[12:13], v[120:121], v[56:57], -v[14:15]
	v_fmac_f64_e32 v[174:175], v[134:135], v[76:77]
	v_accvgpr_write_b32 a53, v1
	v_add_f64 v[92:93], v[0:1], -v[6:7]
	v_add_f64 v[14:15], v[152:153], -v[178:179]
	v_accvgpr_write_b32 a73, v5
	v_add_f64 v[182:183], v[0:1], v[6:7]
	v_accvgpr_write_b32 a52, v0
	v_accvgpr_write_b32 a75, v7
	v_add_f64 v[190:191], v[2:3], v[4:5]
	v_add_f64 v[94:95], v[154:155], -v[174:175]
	v_accvgpr_write_b32 a55, v3
	v_accvgpr_write_b32 a72, v4
	v_add_f64 v[136:137], v[2:3], -v[4:5]
	v_mul_f64 v[0:1], v[14:15], s[20:21]
	v_mul_f64 v[4:5], v[92:93], s[20:21]
	;; [unrolled: 1-line block ×4, first 2 shown]
	v_add_f64 v[184:185], v[152:153], v[178:179]
	v_accvgpr_write_b32 a74, v6
	v_accvgpr_write_b32 a54, v2
	v_mul_f64 v[2:3], v[94:95], s[26:27]
	v_mul_f64 v[6:7], v[136:137], s[26:27]
	v_accvgpr_write_b32 a77, v1
	v_accvgpr_write_b32 a81, v5
	v_fmac_f64_e32 v[156:157], v[102:103], v[44:45]
	v_fmac_f64_e32 v[172:173], v[130:131], v[80:81]
	v_add_f64 v[194:195], v[154:155], v[174:175]
	v_accvgpr_write_b32 a76, v0
	v_fma_f64 v[0:1], s[4:5], v[182:183], v[0:1]
	v_accvgpr_write_b32 a79, v3
	v_accvgpr_write_b32 a80, v4
	v_fma_f64 v[4:5], v[184:185], s[4:5], -v[4:5]
	v_accvgpr_write_b32 a83, v7
	v_mul_f64 v[18:19], v[130:131], v[82:83]
	v_accvgpr_write_b32 a78, v2
	v_fma_f64 v[2:3], s[16:17], v[190:191], v[2:3]
	v_accvgpr_write_b32 a82, v6
	v_fma_f64 v[6:7], v[194:195], s[16:17], -v[6:7]
	v_add_f64 v[0:1], v[88:89], v[0:1]
	v_add_f64 v[4:5], v[90:91], v[4:5]
	v_add_f64 v[138:139], v[156:157], -v[172:173]
	v_fma_f64 v[18:19], v[128:129], v[80:81], -v[18:19]
	v_add_f64 v[0:1], v[2:3], v[0:1]
	v_add_f64 v[2:3], v[6:7], v[4:5]
	v_mul_f64 v[4:5], v[138:139], s[34:35]
	v_add_f64 v[198:199], v[24:25], v[18:19]
	v_accvgpr_write_b32 a85, v5
	v_accvgpr_write_b32 a84, v4
	v_fma_f64 v[4:5], s[18:19], v[198:199], v[4:5]
	v_add_f64 v[250:251], v[24:25], -v[18:19]
	v_mul_f64 v[158:159], v[104:105], v[42:43]
	v_mul_f64 v[170:171], v[124:125], v[86:87]
	v_add_f64 v[0:1], v[4:5], v[0:1]
	v_mul_f64 v[4:5], v[250:251], s[34:35]
	v_fmac_f64_e32 v[158:159], v[106:107], v[40:41]
	v_fmac_f64_e32 v[170:171], v[126:127], v[84:85]
	v_add_f64 v[202:203], v[156:157], v[172:173]
	v_accvgpr_write_b32 a87, v5
	v_mul_f64 v[16:17], v[126:127], v[86:87]
	v_accvgpr_write_b32 a86, v4
	v_fma_f64 v[4:5], v[202:203], s[18:19], -v[4:5]
	v_add_f64 v[128:129], v[158:159], -v[170:171]
	v_fma_f64 v[16:17], v[124:125], v[84:85], -v[16:17]
	v_add_f64 v[2:3], v[4:5], v[2:3]
	v_mul_f64 v[4:5], v[128:129], s[30:31]
	v_add_f64 v[204:205], v[26:27], v[16:17]
	v_accvgpr_write_b32 a89, v5
	v_mul_f64 v[162:163], v[108:109], v[70:71]
	v_mul_f64 v[168:169], v[120:121], v[58:59]
	v_accvgpr_write_b32 a88, v4
	v_fma_f64 v[4:5], s[24:25], v[204:205], v[4:5]
	v_add_f64 v[130:131], v[26:27], -v[16:17]
	v_fmac_f64_e32 v[162:163], v[110:111], v[68:69]
	v_fmac_f64_e32 v[168:169], v[122:123], v[56:57]
	v_add_f64 v[4:5], v[4:5], v[0:1]
	v_mul_f64 v[0:1], v[130:131], s[30:31]
	v_mul_f64 v[8:9], v[110:111], v[70:71]
	v_add_f64 v[208:209], v[158:159], v[170:171]
	v_accvgpr_write_b32 a91, v1
	v_add_f64 v[120:121], v[162:163], -v[168:169]
	v_fma_f64 v[8:9], v[108:109], v[68:69], -v[8:9]
	v_accvgpr_write_b32 a90, v0
	v_fma_f64 v[0:1], v[208:209], s[24:25], -v[0:1]
	v_mul_f64 v[6:7], v[120:121], s[36:37]
	v_add_f64 v[2:3], v[0:1], v[2:3]
	v_add_f64 v[0:1], v[8:9], v[12:13]
	v_accvgpr_write_b32 a93, v7
	v_accvgpr_write_b32 a61, v9
	v_add_f64 v[188:189], v[8:9], -v[12:13]
	v_mul_f64 v[164:165], v[112:113], v[66:67]
	v_mul_f64 v[166:167], v[116:117], v[62:63]
	v_accvgpr_write_b32 a92, v6
	v_fma_f64 v[6:7], s[22:23], v[0:1], v[6:7]
	v_accvgpr_write_b32 a60, v8
	v_mul_f64 v[8:9], v[188:189], s[36:37]
	v_fmac_f64_e32 v[164:165], v[114:115], v[64:65]
	v_fmac_f64_e32 v[166:167], v[118:119], v[60:61]
	v_add_f64 v[4:5], v[6:7], v[4:5]
	v_add_f64 v[6:7], v[162:163], v[168:169]
	v_accvgpr_write_b32 a95, v9
	v_mul_f64 v[10:11], v[114:115], v[66:67]
	v_accvgpr_write_b32 a94, v8
	v_fma_f64 v[8:9], v[6:7], s[22:23], -v[8:9]
	v_add_f64 v[160:161], v[164:165], -v[166:167]
	v_fma_f64 v[10:11], v[112:113], v[64:65], -v[10:11]
	v_accvgpr_write_b32 a67, v13
	v_add_f64 v[2:3], v[8:9], v[2:3]
	v_mul_f64 v[8:9], v[160:161], s[38:39]
	v_accvgpr_write_b32 a71, v19
	v_accvgpr_write_b32 a66, v12
	v_add_f64 v[12:13], v[10:11], v[28:29]
	v_accvgpr_write_b32 a97, v9
	v_add_f64 v[192:193], v[10:11], -v[28:29]
	v_accvgpr_write_b32 a70, v18
	v_accvgpr_write_b32 a96, v8
	v_fma_f64 v[8:9], s[28:29], v[12:13], v[8:9]
	v_add_f64 v[18:19], v[164:165], v[166:167]
	v_mul_f64 v[206:207], v[192:193], s[38:39]
	v_add_f64 v[140:141], v[8:9], v[4:5]
	v_fma_f64 v[4:5], v[18:19], s[28:29], -v[206:207]
	v_mul_f64 v[210:211], v[14:15], s[26:27]
	v_add_f64 v[142:143], v[4:5], v[2:3]
	v_fma_f64 v[2:3], s[16:17], v[182:183], v[210:211]
	v_mul_f64 v[212:213], v[94:95], s[30:31]
	v_add_f64 v[2:3], v[88:89], v[2:3]
	v_fma_f64 v[4:5], s[24:25], v[190:191], v[212:213]
	v_add_f64 v[8:9], v[4:5], v[2:3]
	v_mul_f64 v[4:5], v[92:93], s[26:27]
	v_accvgpr_write_b32 a63, v11
	v_fma_f64 v[2:3], v[184:185], s[16:17], -v[4:5]
	v_mul_f64 v[216:217], v[136:137], s[30:31]
	v_accvgpr_write_b32 a62, v10
	v_add_f64 v[2:3], v[90:91], v[2:3]
	v_fma_f64 v[10:11], v[194:195], s[24:25], -v[216:217]
	v_accvgpr_write_b32 a69, v17
	v_add_f64 v[10:11], v[10:11], v[2:3]
	v_mul_f64 v[2:3], v[138:139], s[38:39]
	v_accvgpr_write_b32 a68, v16
	v_fma_f64 v[16:17], s[28:29], v[198:199], v[2:3]
	v_add_f64 v[16:17], v[16:17], v[8:9]
	v_mul_f64 v[8:9], v[250:251], s[38:39]
	v_fma_f64 v[20:21], v[202:203], s[28:29], -v[8:9]
	v_mul_f64 v[214:215], v[128:129], s[42:43]
	v_add_f64 v[10:11], v[20:21], v[10:11]
	v_fma_f64 v[20:21], s[22:23], v[204:205], v[214:215]
	v_mul_f64 v[218:219], v[130:131], s[42:43]
	v_add_f64 v[16:17], v[20:21], v[16:17]
	v_fma_f64 v[20:21], v[208:209], s[22:23], -v[218:219]
	v_add_f64 v[20:21], v[20:21], v[10:11]
	v_mul_f64 v[10:11], v[120:121], s[40:41]
	v_fma_f64 v[22:23], s[18:19], v[0:1], v[10:11]
	v_accvgpr_write_b32 a57, v25
	v_add_f64 v[22:23], v[22:23], v[16:17]
	v_mul_f64 v[16:17], v[188:189], s[40:41]
	s_mov_b32 s21, 0x3fddbe06
	v_accvgpr_write_b32 a56, v24
	v_fma_f64 v[24:25], v[6:7], s[18:19], -v[16:17]
	v_mul_f64 v[220:221], v[160:161], s[20:21]
	v_add_f64 v[20:21], v[24:25], v[20:21]
	v_fma_f64 v[24:25], s[4:5], v[12:13], v[220:221]
	v_mul_f64 v[222:223], v[192:193], s[20:21]
	v_add_f64 v[104:105], v[24:25], v[22:23]
	v_fma_f64 v[22:23], v[18:19], s[4:5], -v[222:223]
	v_add_f64 v[106:107], v[22:23], v[20:21]
	v_mul_f64 v[20:21], v[14:15], s[34:35]
	v_fma_f64 v[22:23], s[18:19], v[182:183], v[20:21]
	v_accvgpr_write_b32 a59, v27
	v_add_f64 v[24:25], v[88:89], v[22:23]
	v_mul_f64 v[22:23], v[94:95], s[38:39]
	v_accvgpr_write_b32 a58, v26
	v_accvgpr_write_b32 a65, v29
	v_fma_f64 v[26:27], s[28:29], v[190:191], v[22:23]
	v_accvgpr_write_b32 a64, v28
	v_add_f64 v[28:29], v[26:27], v[24:25]
	v_mul_f64 v[26:27], v[92:93], s[34:35]
	v_fma_f64 v[24:25], v[184:185], s[18:19], -v[26:27]
	v_mul_f64 v[30:31], v[136:137], s[38:39]
	v_add_f64 v[24:25], v[90:91], v[24:25]
	v_fma_f64 v[32:33], v[194:195], s[28:29], -v[30:31]
	v_add_f64 v[32:33], v[32:33], v[24:25]
	v_mul_f64 v[24:25], v[138:139], s[44:45]
	v_fma_f64 v[34:35], s[24:25], v[198:199], v[24:25]
	v_add_f64 v[36:37], v[34:35], v[28:29]
	v_mul_f64 v[34:35], v[250:251], s[44:45]
	v_fma_f64 v[28:29], v[202:203], s[24:25], -v[34:35]
	v_add_f64 v[32:33], v[28:29], v[32:33]
	v_mul_f64 v[28:29], v[128:129], s[20:21]
	v_fma_f64 v[38:39], s[4:5], v[204:205], v[28:29]
	v_add_f64 v[36:37], v[38:39], v[36:37]
	v_mul_f64 v[38:39], v[130:131], s[20:21]
	v_fma_f64 v[96:97], v[208:209], s[4:5], -v[38:39]
	v_add_f64 v[96:97], v[96:97], v[32:33]
	v_mul_f64 v[32:33], v[120:121], s[26:27]
	v_fma_f64 v[98:99], s[16:17], v[0:1], v[32:33]
	v_mul_f64 v[224:225], v[188:189], s[26:27]
	v_add_f64 v[98:99], v[98:99], v[36:37]
	v_fma_f64 v[36:37], v[6:7], s[16:17], -v[224:225]
	v_add_f64 v[96:97], v[36:37], v[96:97]
	v_mul_f64 v[36:37], v[160:161], s[36:37]
	v_fma_f64 v[100:101], s[22:23], v[12:13], v[36:37]
	v_mul_f64 v[226:227], v[192:193], s[36:37]
	v_add_f64 v[124:125], v[100:101], v[98:99]
	v_fma_f64 v[98:99], v[18:19], s[22:23], -v[226:227]
	v_mul_f64 v[228:229], v[14:15], s[30:31]
	v_add_f64 v[126:127], v[98:99], v[96:97]
	v_fma_f64 v[96:97], s[24:25], v[182:183], v[228:229]
	v_mul_f64 v[230:231], v[94:95], s[42:43]
	v_add_f64 v[96:97], v[88:89], v[96:97]
	v_fma_f64 v[98:99], s[22:23], v[190:191], v[230:231]
	v_mul_f64 v[242:243], v[92:93], s[30:31]
	v_add_f64 v[96:97], v[98:99], v[96:97]
	v_fma_f64 v[98:99], v[184:185], s[24:25], -v[242:243]
	v_mul_f64 v[244:245], v[136:137], s[42:43]
	v_add_f64 v[98:99], v[90:91], v[98:99]
	v_fma_f64 v[100:101], v[194:195], s[22:23], -v[244:245]
	v_mul_f64 v[232:233], v[138:139], s[20:21]
	v_add_f64 v[98:99], v[100:101], v[98:99]
	v_fma_f64 v[100:101], s[4:5], v[198:199], v[232:233]
	v_mul_f64 v[248:249], v[250:251], s[20:21]
	v_add_f64 v[96:97], v[100:101], v[96:97]
	v_fma_f64 v[100:101], v[202:203], s[4:5], -v[248:249]
	v_mul_f64 v[234:235], v[128:129], s[34:35]
	v_add_f64 v[98:99], v[100:101], v[98:99]
	v_fma_f64 v[100:101], s[18:19], v[204:205], v[234:235]
	v_mul_f64 v[252:253], v[130:131], s[34:35]
	s_mov_b32 s35, 0x3fcea1e5
	s_mov_b32 s34, s38
	v_add_f64 v[96:97], v[100:101], v[96:97]
	v_fma_f64 v[100:101], v[208:209], s[18:19], -v[252:253]
	v_mul_f64 v[240:241], v[120:121], s[34:35]
	v_add_f64 v[98:99], v[100:101], v[98:99]
	v_fma_f64 v[100:101], s[28:29], v[0:1], v[240:241]
	v_mul_f64 v[254:255], v[188:189], s[34:35]
	s_mov_b32 s43, 0x3fea55e2
	s_mov_b32 s42, s26
	v_add_f64 v[96:97], v[100:101], v[96:97]
	v_fma_f64 v[100:101], v[6:7], s[28:29], -v[254:255]
	v_mul_f64 v[246:247], v[160:161], s[42:43]
	v_add_f64 v[98:99], v[100:101], v[98:99]
	v_fma_f64 v[100:101], s[16:17], v[12:13], v[246:247]
	v_mul_f64 v[122:123], v[192:193], s[42:43]
	v_add_f64 v[144:145], v[100:101], v[96:97]
	v_fma_f64 v[96:97], v[18:19], s[16:17], -v[122:123]
	v_mul_f64 v[132:133], v[14:15], s[36:37]
	v_add_f64 v[146:147], v[96:97], v[98:99]
	v_fma_f64 v[96:97], s[22:23], v[182:183], v[132:133]
	v_mul_f64 v[134:135], v[94:95], s[40:41]
	v_add_f64 v[96:97], v[88:89], v[96:97]
	v_fma_f64 v[98:99], s[18:19], v[190:191], v[134:135]
	v_add_f64 v[96:97], v[98:99], v[96:97]
	v_mul_f64 v[98:99], v[92:93], s[36:37]
	v_fma_f64 v[100:101], v[184:185], s[22:23], -v[98:99]
	v_mul_f64 v[102:103], v[136:137], s[40:41]
	v_add_f64 v[100:101], v[90:91], v[100:101]
	v_fma_f64 v[108:109], v[194:195], s[18:19], -v[102:103]
	v_mul_f64 v[180:181], v[138:139], s[26:27]
	v_add_f64 v[100:101], v[108:109], v[100:101]
	v_fma_f64 v[108:109], s[16:17], v[198:199], v[180:181]
	v_mul_f64 v[238:239], v[250:251], s[26:27]
	v_add_f64 v[96:97], v[108:109], v[96:97]
	v_fma_f64 v[108:109], v[202:203], s[16:17], -v[238:239]
	v_mul_f64 v[176:177], v[128:129], s[34:35]
	v_add_f64 v[100:101], v[108:109], v[100:101]
	v_fma_f64 v[108:109], s[28:29], v[204:205], v[176:177]
	v_add_f64 v[110:111], v[108:109], v[96:97]
	v_mul_f64 v[108:109], v[130:131], s[34:35]
	v_fma_f64 v[96:97], v[208:209], s[28:29], -v[108:109]
	v_add_f64 v[100:101], v[96:97], v[100:101]
	v_mul_f64 v[96:97], v[120:121], s[20:21]
	v_fma_f64 v[112:113], s[4:5], v[0:1], v[96:97]
	v_add_f64 v[112:113], v[112:113], v[110:111]
	v_mul_f64 v[110:111], v[188:189], s[20:21]
	v_fma_f64 v[114:115], v[6:7], s[4:5], -v[110:111]
	v_add_f64 v[114:115], v[114:115], v[100:101]
	v_mul_f64 v[100:101], v[160:161], s[30:31]
	v_fma_f64 v[116:117], s[24:25], v[12:13], v[100:101]
	v_mul_f64 v[186:187], v[192:193], s[30:31]
	v_add_f64 v[148:149], v[116:117], v[112:113]
	v_fma_f64 v[112:113], v[18:19], s[24:25], -v[186:187]
	v_mul_f64 v[14:15], v[14:15], s[38:39]
	v_add_f64 v[150:151], v[112:113], v[114:115]
	v_fma_f64 v[112:113], s[28:29], v[182:183], v[14:15]
	v_mul_f64 v[94:95], v[94:95], s[20:21]
	v_add_f64 v[112:113], v[88:89], v[112:113]
	v_fma_f64 v[114:115], s[4:5], v[190:191], v[94:95]
	v_add_f64 v[116:117], v[114:115], v[112:113]
	v_mul_f64 v[112:113], v[92:93], s[38:39]
	v_fma_f64 v[92:93], v[184:185], s[28:29], -v[112:113]
	v_mul_f64 v[114:115], v[136:137], s[20:21]
	v_add_f64 v[92:93], v[90:91], v[92:93]
	v_fma_f64 v[118:119], v[194:195], s[4:5], -v[114:115]
	v_add_f64 v[118:119], v[118:119], v[92:93]
	v_mul_f64 v[92:93], v[138:139], s[36:37]
	v_fma_f64 v[136:137], s[22:23], v[198:199], v[92:93]
	v_add_f64 v[136:137], v[136:137], v[116:117]
	v_mul_f64 v[116:117], v[250:251], s[36:37]
	v_fma_f64 v[138:139], v[202:203], s[22:23], -v[116:117]
	v_mul_f64 v[250:251], v[128:129], s[42:43]
	v_add_f64 v[138:139], v[138:139], v[118:119]
	v_fma_f64 v[118:119], s[16:17], v[204:205], v[250:251]
	v_add_f64 v[128:129], v[118:119], v[136:137]
	v_mul_f64 v[118:119], v[130:131], s[42:43]
	v_fma_f64 v[130:131], v[208:209], s[16:17], -v[118:119]
	v_add_f64 v[136:137], v[130:131], v[138:139]
	v_mul_f64 v[130:131], v[120:121], s[30:31]
	v_fma_f64 v[120:121], s[24:25], v[0:1], v[130:131]
	v_add_f64 v[138:139], v[120:121], v[128:129]
	v_mul_f64 v[120:121], v[188:189], s[30:31]
	v_fma_f64 v[128:129], v[6:7], s[24:25], -v[120:121]
	v_add_f64 v[196:197], v[128:129], v[136:137]
	v_mul_f64 v[128:129], v[160:161], s[40:41]
	v_mul_f64 v[188:189], v[192:193], s[40:41]
	v_fma_f64 v[136:137], s[18:19], v[12:13], v[128:129]
	v_add_f64 v[136:137], v[136:137], v[138:139]
	v_fma_f64 v[138:139], v[18:19], s[18:19], -v[188:189]
	v_lshrrev_b32_e32 v160, 1, v200
	v_add_f64 v[138:139], v[138:139], v[196:197]
	v_accvgpr_write_b32 a46, v160
	s_and_saveexec_b64 s[20:21], s[2:3]
	s_cbranch_execz .LBB0_11
; %bb.10:
	v_mul_f64 v[160:161], v[18:19], s[18:19]
	v_add_f64 v[160:161], v[188:189], v[160:161]
	v_mul_f64 v[188:189], v[6:7], s[24:25]
	v_add_f64 v[120:121], v[120:121], v[188:189]
	;; [unrolled: 2-line block ×6, first 2 shown]
	v_add_f64 v[112:113], v[90:91], v[112:113]
	v_add_f64 v[112:113], v[114:115], v[112:113]
	v_add_f64 v[114:115], v[116:117], v[112:113]
	v_add_f64 v[114:115], v[118:119], v[114:115]
	v_add_f64 v[114:115], v[120:121], v[114:115]
	v_mul_f64 v[120:121], v[0:1], s[24:25]
	v_add_f64 v[120:121], v[120:121], -v[130:131]
	v_mul_f64 v[130:131], v[198:199], s[22:23]
	v_add_f64 v[92:93], v[130:131], -v[92:93]
	;; [unrolled: 2-line block ×4, first 2 shown]
	v_mul_f64 v[118:119], v[12:13], s[18:19]
	v_add_f64 v[14:15], v[88:89], v[14:15]
	v_add_f64 v[118:119], v[118:119], -v[128:129]
	v_mul_f64 v[128:129], v[204:205], s[16:17]
	v_add_f64 v[14:15], v[94:95], v[14:15]
	v_add_f64 v[128:129], v[128:129], -v[250:251]
	v_add_f64 v[14:15], v[92:93], v[14:15]
	v_add_f64 v[14:15], v[128:129], v[14:15]
	;; [unrolled: 1-line block ×3, first 2 shown]
	v_mul_f64 v[112:113], v[182:183], s[4:5]
	v_mul_f64 v[130:131], v[182:183], s[16:17]
	;; [unrolled: 1-line block ×4, first 2 shown]
	v_add_f64 v[94:95], v[160:161], v[114:115]
	v_add_f64 v[92:93], v[118:119], v[14:15]
	v_mul_f64 v[114:115], v[182:183], s[22:23]
	v_mul_f64 v[118:119], v[184:185], s[22:23]
	;; [unrolled: 1-line block ×7, first 2 shown]
	v_add_f64 v[110:111], v[110:111], v[182:183]
	v_mul_f64 v[182:183], v[208:209], s[28:29]
	v_mul_f64 v[184:185], v[194:195], s[18:19]
	v_add_f64 v[98:99], v[98:99], v[118:119]
	v_add_f64 v[108:109], v[108:109], v[182:183]
	v_mul_f64 v[182:183], v[202:203], s[16:17]
	v_add_f64 v[102:103], v[102:103], v[184:185]
	v_add_f64 v[98:99], v[90:91], v[98:99]
	;; [unrolled: 1-line block ×7, first 2 shown]
	v_mul_f64 v[110:111], v[12:13], s[24:25]
	v_add_f64 v[100:101], v[110:111], -v[100:101]
	v_mul_f64 v[110:111], v[0:1], s[4:5]
	v_add_f64 v[96:97], v[110:111], -v[96:97]
	;; [unrolled: 2-line block ×5, first 2 shown]
	v_add_f64 v[134:135], v[180:181], -v[134:135]
	v_add_f64 v[114:115], v[88:89], v[114:115]
	v_add_f64 v[114:115], v[134:135], v[114:115]
	v_mul_f64 v[160:161], v[18:19], s[24:25]
	v_add_f64 v[114:115], v[176:177], v[114:115]
	v_add_f64 v[160:161], v[186:187], v[160:161]
	v_mul_f64 v[184:185], v[190:191], s[16:17]
	v_mul_f64 v[102:103], v[190:191], s[24:25]
	v_mul_f64 v[108:109], v[190:191], s[28:29]
	v_mul_f64 v[186:187], v[190:191], s[22:23]
	v_mul_f64 v[190:191], v[194:195], s[22:23]
	v_add_f64 v[110:111], v[110:111], v[114:115]
	v_add_f64 v[14:15], v[242:243], v[14:15]
	v_mul_f64 v[118:119], v[194:195], s[16:17]
	v_mul_f64 v[182:183], v[194:195], s[24:25]
	;; [unrolled: 1-line block ×3, first 2 shown]
	v_add_f64 v[96:97], v[96:97], v[110:111]
	v_mul_f64 v[194:195], v[202:203], s[4:5]
	v_add_f64 v[190:191], v[244:245], v[190:191]
	v_add_f64 v[14:15], v[90:91], v[14:15]
	;; [unrolled: 1-line block ×3, first 2 shown]
	v_mul_f64 v[132:133], v[198:199], s[18:19]
	v_mul_f64 v[176:177], v[198:199], s[28:29]
	;; [unrolled: 1-line block ×3, first 2 shown]
	v_add_f64 v[98:99], v[160:161], v[98:99]
	v_add_f64 v[96:97], v[100:101], v[96:97]
	v_mul_f64 v[100:101], v[202:203], s[24:25]
	v_mul_f64 v[160:161], v[198:199], s[4:5]
	;; [unrolled: 1-line block ×4, first 2 shown]
	v_add_f64 v[194:195], v[248:249], v[194:195]
	v_add_f64 v[14:15], v[190:191], v[14:15]
	;; [unrolled: 1-line block ×4, first 2 shown]
	v_mul_f64 v[134:135], v[202:203], s[18:19]
	v_mul_f64 v[114:115], v[202:203], s[28:29]
	v_add_f64 v[122:123], v[122:123], v[196:197]
	v_mul_f64 v[196:197], v[6:7], s[28:29]
	v_add_f64 v[198:199], v[252:253], v[198:199]
	v_mul_f64 v[202:203], v[204:205], s[24:25]
	v_mul_f64 v[238:239], v[208:209], s[24:25]
	;; [unrolled: 1-line block ×7, first 2 shown]
	v_add_f64 v[14:15], v[194:195], v[14:15]
	v_add_f64 v[120:121], v[120:121], -v[228:229]
	v_add_f64 v[34:35], v[34:35], v[100:101]
	v_add_f64 v[26:27], v[30:31], v[26:27]
	;; [unrolled: 1-line block ×4, first 2 shown]
	v_mul_f64 v[198:199], v[6:7], s[22:23]
	v_add_f64 v[204:205], v[204:205], -v[234:235]
	v_mul_f64 v[234:235], v[6:7], s[18:19]
	v_mul_f64 v[6:7], v[6:7], s[16:17]
	v_add_f64 v[186:187], v[186:187], -v[230:231]
	v_add_f64 v[120:121], v[88:89], v[120:121]
	v_add_f64 v[38:39], v[38:39], v[208:209]
	;; [unrolled: 1-line block ×3, first 2 shown]
	v_add_f64 v[20:21], v[192:193], -v[20:21]
	v_add_f64 v[14:15], v[196:197], v[14:15]
	v_mul_f64 v[196:197], v[12:13], s[16:17]
	v_mul_f64 v[230:231], v[18:19], s[28:29]
	v_add_f64 v[120:121], v[186:187], v[120:121]
	v_mul_f64 v[186:187], v[18:19], s[4:5]
	v_mul_f64 v[18:19], v[18:19], s[22:23]
	v_add_f64 v[6:7], v[224:225], v[6:7]
	v_add_f64 v[26:27], v[38:39], v[26:27]
	v_add_f64 v[22:23], v[108:109], -v[22:23]
	v_add_f64 v[20:21], v[88:89], v[20:21]
	v_add_f64 v[196:197], v[196:197], -v[246:247]
	v_mul_f64 v[246:247], v[0:1], s[28:29]
	v_add_f64 v[18:19], v[226:227], v[18:19]
	v_add_f64 v[6:7], v[6:7], v[26:27]
	v_add_f64 v[24:25], v[110:111], -v[24:25]
	v_add_f64 v[20:21], v[22:23], v[20:21]
	v_mul_f64 v[194:195], v[0:1], s[22:23]
	v_add_f64 v[240:241], v[246:247], -v[240:241]
	v_mul_f64 v[246:247], v[0:1], s[18:19]
	v_mul_f64 v[0:1], v[0:1], s[16:17]
	v_add_f64 v[26:27], v[18:19], v[6:7]
	v_add_f64 v[18:19], v[190:191], -v[28:29]
	v_add_f64 v[20:21], v[24:25], v[20:21]
	v_add_f64 v[0:1], v[0:1], -v[32:33]
	v_add_f64 v[18:19], v[18:19], v[20:21]
	v_add_f64 v[4:5], v[4:5], v[188:189]
	v_mul_f64 v[248:249], v[12:13], s[22:23]
	v_add_f64 v[0:1], v[0:1], v[18:19]
	v_add_f64 v[18:19], v[216:217], v[182:183]
	;; [unrolled: 1-line block ×3, first 2 shown]
	v_add_f64 v[6:7], v[248:249], -v[36:37]
	v_add_f64 v[8:9], v[8:9], v[114:115]
	v_add_f64 v[4:5], v[18:19], v[4:5]
	;; [unrolled: 1-line block ×7, first 2 shown]
	v_add_f64 v[16:17], v[130:131], -v[210:211]
	v_add_f64 v[4:5], v[6:7], v[4:5]
	v_add_f64 v[6:7], v[246:247], -v[10:11]
	v_add_f64 v[10:11], v[102:103], -v[212:213]
	v_add_f64 v[16:17], v[88:89], v[16:17]
	v_accvgpr_read_b32 v18, a80
	v_add_f64 v[2:3], v[176:177], -v[2:3]
	v_add_f64 v[10:11], v[10:11], v[16:17]
	v_accvgpr_read_b32 v16, a82
	v_accvgpr_read_b32 v19, a81
	v_add_f64 v[8:9], v[244:245], -v[214:215]
	v_add_f64 v[2:3], v[2:3], v[10:11]
	v_accvgpr_read_b32 v10, a86
	v_accvgpr_read_b32 v17, a83
	v_add_f64 v[18:19], v[18:19], v[116:117]
	v_add_f64 v[2:3], v[8:9], v[2:3]
	v_accvgpr_read_b32 v8, a90
	v_accvgpr_read_b32 v11, a87
	v_add_f64 v[16:17], v[16:17], v[118:119]
	v_add_f64 v[18:19], v[90:91], v[18:19]
	;; [unrolled: 1-line block ×3, first 2 shown]
	v_accvgpr_read_b32 v6, a94
	v_accvgpr_read_b32 v9, a91
	v_add_f64 v[10:11], v[10:11], v[134:135]
	v_add_f64 v[16:17], v[16:17], v[18:19]
	v_accvgpr_read_b32 v20, a76
	v_mul_f64 v[228:229], v[12:13], s[4:5]
	v_add_f64 v[0:1], v[222:223], v[186:187]
	v_accvgpr_read_b32 v7, a95
	v_add_f64 v[8:9], v[8:9], v[238:239]
	v_add_f64 v[10:11], v[10:11], v[16:17]
	v_accvgpr_read_b32 v18, a78
	v_accvgpr_read_b32 v21, a77
	v_add_f64 v[4:5], v[0:1], v[4:5]
	v_add_f64 v[0:1], v[228:229], -v[220:221]
	v_add_f64 v[6:7], v[6:7], v[198:199]
	v_add_f64 v[8:9], v[8:9], v[10:11]
	v_accvgpr_read_b32 v16, a84
	v_accvgpr_read_b32 v19, a79
	v_add_f64 v[20:21], v[112:113], -v[20:21]
	v_add_f64 v[2:3], v[0:1], v[2:3]
	v_add_f64 v[0:1], v[206:207], v[230:231]
	;; [unrolled: 1-line block ×3, first 2 shown]
	v_accvgpr_read_b32 v10, a88
	v_accvgpr_read_b32 v17, a85
	v_add_f64 v[18:19], v[184:185], -v[18:19]
	v_add_f64 v[20:21], v[88:89], v[20:21]
	v_add_f64 v[8:9], v[0:1], v[6:7]
	v_accvgpr_read_b32 v6, a92
	v_accvgpr_read_b32 v11, a89
	v_add_f64 v[16:17], v[132:133], -v[16:17]
	v_add_f64 v[18:19], v[18:19], v[20:21]
	v_accvgpr_read_b32 v0, a96
	v_accvgpr_read_b32 v7, a93
	v_add_f64 v[10:11], v[202:203], -v[10:11]
	v_add_f64 v[16:17], v[16:17], v[18:19]
	v_add_f64 v[160:161], v[160:161], -v[232:233]
	v_mul_f64 v[232:233], v[12:13], s[28:29]
	v_accvgpr_read_b32 v1, a97
	v_add_f64 v[6:7], v[194:195], -v[6:7]
	v_add_f64 v[10:11], v[10:11], v[16:17]
	v_add_f64 v[0:1], v[232:233], -v[0:1]
	v_add_f64 v[6:7], v[6:7], v[10:11]
	v_add_f64 v[6:7], v[0:1], v[6:7]
	;; [unrolled: 1-line block ×14, first 2 shown]
	v_accvgpr_read_b32 v0, a52
	v_accvgpr_read_b32 v1, a53
	v_accvgpr_read_b32 v10, a54
	v_add_f64 v[0:1], v[88:89], v[0:1]
	v_accvgpr_read_b32 v11, a55
	v_add_f64 v[0:1], v[0:1], v[10:11]
	v_accvgpr_read_b32 v10, a56
	v_accvgpr_read_b32 v11, a57
	v_add_f64 v[0:1], v[0:1], v[10:11]
	v_accvgpr_read_b32 v10, a58
	;; [unrolled: 3-line block ×11, first 2 shown]
	v_add_f64 v[12:13], v[160:161], v[120:121]
	v_mul_u32_u24_e32 v0, 26, v0
	v_accvgpr_read_b32 v1, a11
	v_add_f64 v[12:13], v[204:205], v[12:13]
	v_or_b32_e32 v0, v0, v1
	v_add_f64 v[12:13], v[240:241], v[12:13]
	v_lshlrev_b32_e32 v0, 4, v0
	v_add_f64 v[14:15], v[122:123], v[14:15]
	v_add_f64 v[12:13], v[196:197], v[12:13]
	ds_write_b128 v0, v[16:19]
	ds_write_b128 v0, v[6:9] offset:32
	ds_write_b128 v0, v[2:5] offset:64
	;; [unrolled: 1-line block ×12, first 2 shown]
.LBB0_11:
	s_or_b64 exec, exec, s[20:21]
	s_waitcnt lgkmcnt(0)
	s_barrier
	ds_read_b128 v[152:155], v236
	ds_read_b128 v[132:135], v236 offset:4576
	ds_read_b128 v[128:131], v236 offset:9152
	;; [unrolled: 1-line block ×6, first 2 shown]
	s_movk_i32 s4, 0x68
	v_accvgpr_read_b32 v160, a10
	v_cmp_gt_u16_e64 s[4:5], s4, v160
                                        ; implicit-def: $vgpr156_vgpr157
	s_and_saveexec_b64 s[16:17], s[4:5]
	s_cbranch_execz .LBB0_13
; %bb.12:
	ds_read_b128 v[136:139], v236 offset:2912
	ds_read_b128 v[148:151], v236 offset:7488
	;; [unrolled: 1-line block ×7, first 2 shown]
.LBB0_13:
	s_or_b64 exec, exec, s[16:17]
	s_movk_i32 s16, 0x4f
	v_mul_lo_u16_sdwa v0, v160, s16 dst_sel:DWORD dst_unused:UNUSED_PAD src0_sel:BYTE_0 src1_sel:DWORD
	v_lshrrev_b16_e32 v161, 11, v0
	v_mul_lo_u16_e32 v0, 26, v161
	v_sub_u16_e32 v0, v160, v0
	v_and_b32_e32 v162, 0xff, v0
	s_movk_i32 s16, 0x60
	v_mov_b64_e32 v[0:1], s[0:1]
	v_mad_u64_u32 v[16:17], s[16:17], v162, s16, v[0:1]
	global_load_dwordx4 v[108:111], v[16:17], off offset:432
	global_load_dwordx4 v[112:115], v[16:17], off offset:416
	;; [unrolled: 1-line block ×4, first 2 shown]
	s_movk_i32 s16, 0x4ec5
	v_accvgpr_read_b32 v18, a50
	v_mov_b32_e32 v189, 0
	s_mov_b32 s18, 0x37e14327
	s_mov_b32 s22, 0xe976ee23
	;; [unrolled: 1-line block ×18, first 2 shown]
	s_waitcnt vmcnt(3) lgkmcnt(2)
	v_mul_f64 v[12:13], v[98:99], v[110:111]
	v_mul_f64 v[14:15], v[96:97], v[110:111]
	s_waitcnt vmcnt(1)
	v_mul_f64 v[4:5], v[130:131], v[118:119]
	s_waitcnt vmcnt(0)
	v_mul_f64 v[0:1], v[134:135], v[122:123]
	v_mul_f64 v[2:3], v[132:133], v[122:123]
	v_mul_f64 v[6:7], v[128:129], v[118:119]
	v_fma_f64 v[0:1], v[132:133], v[120:121], -v[0:1]
	v_fmac_f64_e32 v[2:3], v[134:135], v[120:121]
	v_fma_f64 v[4:5], v[128:129], v[116:117], -v[4:5]
	v_fmac_f64_e32 v[6:7], v[130:131], v[116:117]
	global_load_dwordx4 v[128:131], v[16:17], off offset:464
	global_load_dwordx4 v[132:135], v[16:17], off offset:448
	v_fma_f64 v[12:13], v[96:97], v[108:109], -v[12:13]
	v_fmac_f64_e32 v[14:15], v[98:99], v[108:109]
	v_mul_f64 v[8:9], v[102:103], v[114:115]
	v_fma_f64 v[8:9], v[100:101], v[112:113], -v[8:9]
	v_mul_f64 v[10:11], v[100:101], v[114:115]
	v_fmac_f64_e32 v[10:11], v[102:103], v[112:113]
	s_waitcnt vmcnt(1) lgkmcnt(0)
	v_mul_f64 v[38:39], v[88:89], v[130:131]
	s_waitcnt vmcnt(0)
	v_mul_f64 v[16:17], v[94:95], v[134:135]
	v_fma_f64 v[32:33], v[92:93], v[132:133], -v[16:17]
	v_mul_f64 v[16:17], v[90:91], v[130:131]
	v_fma_f64 v[36:37], v[88:89], v[128:129], -v[16:17]
	v_mul_u32_u24_sdwa v16, v18, s16 dst_sel:DWORD dst_unused:UNUSED_PAD src0_sel:WORD_0 src1_sel:DWORD
	v_lshrrev_b32_e32 v16, 19, v16
	v_accvgpr_write_b32 a50, v16
	v_mul_lo_u16_e32 v16, 26, v16
	v_sub_u16_e32 v16, v18, v16
	v_mul_lo_u16_e32 v188, 0x60, v16
	v_lshl_add_u64 v[88:89], s[0:1], 0, v[188:189]
	v_mul_f64 v[34:35], v[92:93], v[134:135]
	v_fmac_f64_e32 v[38:39], v[90:91], v[128:129]
	global_load_dwordx4 v[90:93], v[88:89], off offset:432
	global_load_dwordx4 v[28:31], v[88:89], off offset:416
	;; [unrolled: 1-line block ×4, first 2 shown]
	v_accvgpr_write_b32 a51, v16
	v_fmac_f64_e32 v[34:35], v[94:95], v[132:133]
	s_mov_b32 s16, 0x36b3c0b5
	s_mov_b32 s17, 0x3fac98ee
	s_waitcnt vmcnt(3)
	v_accvgpr_write_b32 a52, v90
	s_waitcnt vmcnt(2)
	v_accvgpr_write_b32 a59, v31
	;; [unrolled: 2-line block ×3, first 2 shown]
	s_waitcnt vmcnt(0)
	v_mul_f64 v[16:17], v[150:151], v[22:23]
	v_mul_f64 v[18:19], v[148:149], v[22:23]
	v_accvgpr_write_b32 a67, v23
	v_fma_f64 v[16:17], v[148:149], v[20:21], -v[16:17]
	v_accvgpr_write_b32 a66, v22
	v_accvgpr_write_b32 a65, v21
	v_accvgpr_write_b32 a64, v20
	v_fmac_f64_e32 v[18:19], v[150:151], v[20:21]
	v_mul_f64 v[20:21], v[146:147], v[26:27]
	v_mul_f64 v[22:23], v[144:145], v[26:27]
	v_fma_f64 v[20:21], v[144:145], v[24:25], -v[20:21]
	v_accvgpr_write_b32 a62, v26
	v_accvgpr_write_b32 a61, v25
	v_accvgpr_write_b32 a60, v24
	v_fmac_f64_e32 v[22:23], v[146:147], v[24:25]
	v_mul_f64 v[24:25], v[126:127], v[30:31]
	v_mul_f64 v[26:27], v[124:125], v[30:31]
	v_fma_f64 v[24:25], v[124:125], v[28:29], -v[24:25]
	v_accvgpr_write_b32 a58, v30
	v_accvgpr_write_b32 a57, v29
	v_accvgpr_write_b32 a56, v28
	v_fmac_f64_e32 v[26:27], v[126:127], v[28:29]
	v_mul_f64 v[28:29], v[106:107], v[92:93]
	v_mul_f64 v[30:31], v[104:105], v[92:93]
	v_accvgpr_write_b32 a53, v91
	v_accvgpr_write_b32 a54, v92
	;; [unrolled: 1-line block ×3, first 2 shown]
	global_load_dwordx4 v[92:95], v[88:89], off offset:464
	global_load_dwordx4 v[96:99], v[88:89], off offset:448
	v_fma_f64 v[28:29], v[104:105], v[90:91], -v[28:29]
	v_fmac_f64_e32 v[30:31], v[106:107], v[90:91]
	s_barrier
	s_waitcnt vmcnt(1)
	v_mul_f64 v[90:91], v[158:159], v[94:95]
	s_waitcnt vmcnt(0)
	v_mul_f64 v[88:89], v[142:143], v[98:99]
	v_mul_f64 v[106:107], v[140:141], v[98:99]
	v_fma_f64 v[88:89], v[140:141], v[96:97], -v[88:89]
	v_fmac_f64_e32 v[106:107], v[142:143], v[96:97]
	v_fma_f64 v[140:141], v[156:157], v[92:93], -v[90:91]
	v_mul_f64 v[142:143], v[156:157], v[94:95]
	v_accvgpr_write_b32 a68, v92
	v_add_f64 v[90:91], v[0:1], v[36:37]
	v_add_f64 v[0:1], v[0:1], -v[36:37]
	v_add_f64 v[36:37], v[4:5], v[32:33]
	v_accvgpr_write_b32 a69, v93
	v_accvgpr_write_b32 a70, v94
	;; [unrolled: 1-line block ×3, first 2 shown]
	v_fmac_f64_e32 v[142:143], v[158:159], v[92:93]
	v_add_f64 v[92:93], v[2:3], v[38:39]
	v_add_f64 v[2:3], v[2:3], -v[38:39]
	v_add_f64 v[38:39], v[6:7], v[34:35]
	v_add_f64 v[4:5], v[4:5], -v[32:33]
	;; [unrolled: 2-line block ×5, first 2 shown]
	v_add_f64 v[14:15], v[38:39], v[92:93]
	v_add_f64 v[12:13], v[32:33], v[12:13]
	v_accvgpr_write_b32 a72, v96
	v_add_f64 v[94:95], v[36:37], -v[90:91]
	v_add_f64 v[90:91], v[90:91], -v[32:33]
	;; [unrolled: 1-line block ×3, first 2 shown]
	v_add_f64 v[14:15], v[34:35], v[14:15]
	v_add_f64 v[32:33], v[152:153], v[12:13]
	v_accvgpr_write_b32 a73, v97
	v_accvgpr_write_b32 a74, v98
	;; [unrolled: 1-line block ×3, first 2 shown]
	v_add_f64 v[96:97], v[38:39], -v[92:93]
	v_add_f64 v[92:93], v[92:93], -v[34:35]
	;; [unrolled: 1-line block ×3, first 2 shown]
	v_add_f64 v[98:99], v[8:9], v[4:5]
	v_add_f64 v[100:101], v[10:11], v[6:7]
	v_add_f64 v[102:103], v[8:9], -v[4:5]
	v_add_f64 v[104:105], v[10:11], -v[6:7]
	;; [unrolled: 1-line block ×4, first 2 shown]
	v_add_f64 v[34:35], v[154:155], v[14:15]
	v_mov_b64_e32 v[144:145], v[32:33]
	v_add_f64 v[8:9], v[0:1], -v[8:9]
	v_add_f64 v[10:11], v[2:3], -v[10:11]
	v_add_f64 v[0:1], v[98:99], v[0:1]
	v_add_f64 v[2:3], v[100:101], v[2:3]
	v_mul_f64 v[90:91], v[90:91], s[18:19]
	v_mul_f64 v[92:93], v[92:93], s[18:19]
	;; [unrolled: 1-line block ×8, first 2 shown]
	v_fmac_f64_e32 v[144:145], s[24:25], v[12:13]
	v_mov_b64_e32 v[12:13], v[34:35]
	v_fmac_f64_e32 v[12:13], s[24:25], v[14:15]
	v_fma_f64 v[14:15], v[94:95], s[26:27], -v[98:99]
	v_fma_f64 v[98:99], v[96:97], s[26:27], -v[100:101]
	;; [unrolled: 1-line block ×3, first 2 shown]
	v_fmac_f64_e32 v[90:91], s[16:17], v[36:37]
	v_fma_f64 v[36:37], v[96:97], s[28:29], -v[92:93]
	v_fmac_f64_e32 v[92:93], s[16:17], v[38:39]
	v_fma_f64 v[4:5], v[4:5], s[20:21], -v[126:127]
	;; [unrolled: 2-line block ×4, first 2 shown]
	v_fma_f64 v[10:11], v[10:11], s[36:37], -v[104:105]
	v_add_f64 v[148:149], v[92:93], v[12:13]
	v_add_f64 v[100:101], v[98:99], v[12:13]
	;; [unrolled: 1-line block ×4, first 2 shown]
	v_fmac_f64_e32 v[8:9], s[34:35], v[0:1]
	v_fmac_f64_e32 v[10:11], s[34:35], v[2:3]
	v_add_f64 v[146:147], v[90:91], v[144:145]
	v_add_f64 v[14:15], v[14:15], v[144:145]
	v_fmac_f64_e32 v[126:127], s[34:35], v[0:1]
	v_fmac_f64_e32 v[124:125], s[34:35], v[2:3]
	;; [unrolled: 1-line block ×4, first 2 shown]
	v_add_f64 v[90:91], v[10:11], v[102:103]
	v_add_f64 v[92:93], v[12:13], -v[8:9]
	v_add_f64 v[102:103], v[102:103], -v[10:11]
	v_add_f64 v[104:105], v[8:9], v[12:13]
	v_add_f64 v[0:1], v[16:17], v[140:141]
	;; [unrolled: 1-line block ×5, first 2 shown]
	v_add_f64 v[94:95], v[14:15], -v[6:7]
	v_add_f64 v[96:97], v[4:5], v[100:101]
	v_add_f64 v[98:99], v[6:7], v[14:15]
	v_add_f64 v[100:101], v[100:101], -v[4:5]
	v_add_f64 v[4:5], v[16:17], -v[140:141]
	;; [unrolled: 1-line block ×5, first 2 shown]
	v_add_f64 v[16:17], v[24:25], v[28:29]
	v_add_f64 v[18:19], v[26:27], v[30:31]
	v_add_f64 v[20:21], v[28:29], -v[24:25]
	v_add_f64 v[22:23], v[30:31], -v[26:27]
	v_add_f64 v[24:25], v[8:9], v[0:1]
	v_add_f64 v[26:27], v[10:11], v[2:3]
	v_add_f64 v[28:29], v[8:9], -v[0:1]
	v_add_f64 v[30:31], v[10:11], -v[2:3]
	;; [unrolled: 1-line block ×6, first 2 shown]
	v_add_f64 v[88:89], v[20:21], v[12:13]
	v_add_f64 v[106:107], v[22:23], v[14:15]
	v_add_f64 v[140:141], v[20:21], -v[12:13]
	v_add_f64 v[142:143], v[22:23], -v[14:15]
	;; [unrolled: 1-line block ×3, first 2 shown]
	v_add_f64 v[14:15], v[16:17], v[24:25]
	v_add_f64 v[16:17], v[18:19], v[26:27]
	v_add_f64 v[20:21], v[4:5], -v[20:21]
	v_add_f64 v[22:23], v[6:7], -v[22:23]
	v_add_f64 v[24:25], v[88:89], v[4:5]
	v_add_f64 v[26:27], v[106:107], v[6:7]
	;; [unrolled: 1-line block ×3, first 2 shown]
	v_mul_f64 v[6:7], v[2:3], s[18:19]
	v_mul_f64 v[2:3], v[8:9], s[16:17]
	;; [unrolled: 1-line block ×4, first 2 shown]
	v_add_f64 v[36:37], v[124:125], v[146:147]
	v_add_f64 v[38:39], v[148:149], -v[126:127]
	v_add_f64 v[124:125], v[146:147], -v[124:125]
	v_add_f64 v[126:127], v[126:127], v[148:149]
	v_add_f64 v[12:13], v[12:13], -v[4:5]
	v_add_f64 v[136:137], v[136:137], v[14:15]
	v_mul_f64 v[4:5], v[0:1], s[18:19]
	v_mul_f64 v[0:1], v[142:143], s[22:23]
	;; [unrolled: 1-line block ×3, first 2 shown]
	v_fma_f64 v[146:147], s[24:25], v[16:17], v[138:139]
	v_fma_f64 v[148:149], v[28:29], s[26:27], -v[2:3]
	v_fma_f64 v[150:151], v[30:31], s[26:27], -v[18:19]
	;; [unrolled: 1-line block ×3, first 2 shown]
	v_fmac_f64_e32 v[6:7], s[16:17], v[10:11]
	v_fma_f64 v[2:3], s[30:31], v[20:21], v[88:89]
	v_mul_f64 v[106:107], v[12:13], s[20:21]
	v_fma_f64 v[142:143], s[24:25], v[14:15], v[136:137]
	v_fma_f64 v[16:17], s[16:17], v[8:9], v[4:5]
	v_fma_f64 v[10:11], v[144:145], s[20:21], -v[0:1]
	v_fmac_f64_e32 v[0:1], s[30:31], v[22:23]
	v_fma_f64 v[8:9], v[22:23], s[36:37], -v[140:141]
	v_add_f64 v[6:7], v[6:7], v[146:147]
	v_fmac_f64_e32 v[2:3], s[34:35], v[24:25]
	v_fma_f64 v[28:29], v[28:29], s[28:29], -v[4:5]
	v_fma_f64 v[14:15], v[12:13], s[20:21], -v[88:89]
	;; [unrolled: 1-line block ×3, first 2 shown]
	v_add_f64 v[4:5], v[16:17], v[142:143]
	v_fmac_f64_e32 v[0:1], s[34:35], v[26:27]
	v_fmac_f64_e32 v[10:11], s[34:35], v[26:27]
	;; [unrolled: 1-line block ×3, first 2 shown]
	v_add_f64 v[26:27], v[2:3], v[6:7]
	v_fmac_f64_e32 v[14:15], s[34:35], v[24:25]
	v_fmac_f64_e32 v[12:13], s[34:35], v[24:25]
	v_add_f64 v[24:25], v[4:5], -v[0:1]
	v_accvgpr_write_b32 a79, v27
	v_add_f64 v[18:19], v[148:149], v[142:143]
	v_add_f64 v[22:23], v[150:151], v[146:147]
	;; [unrolled: 1-line block ×4, first 2 shown]
	v_accvgpr_write_b32 a78, v26
	v_accvgpr_write_b32 a77, v25
	;; [unrolled: 1-line block ×3, first 2 shown]
	v_mul_u32_u24_e32 v24, 0xb6, v161
	v_add_f64 v[184:185], v[10:11], v[18:19]
	v_add_f64 v[186:187], v[22:23], -v[14:15]
	v_add_f64 v[180:181], v[16:17], -v[8:9]
	v_add_f64 v[182:183], v[12:13], v[20:21]
	s_movk_i32 s18, 0xb6
	v_add_lshl_u32 v237, v24, v162, 4
	ds_write_b128 v237, v[32:35]
	ds_write_b128 v237, v[36:39] offset:416
	ds_write_b128 v237, v[90:93] offset:832
	;; [unrolled: 1-line block ×6, first 2 shown]
	s_and_saveexec_b64 s[16:17], s[4:5]
	s_cbranch_execz .LBB0_15
; %bb.14:
	v_add_f64 v[0:1], v[0:1], v[4:5]
	v_accvgpr_read_b32 v4, a50
	v_accvgpr_read_b32 v5, a51
	v_mad_legacy_u16 v4, v4, s18, v5
	v_lshlrev_b32_e32 v4, 4, v4
	v_add_f64 v[24:25], v[14:15], v[22:23]
	v_add_f64 v[22:23], v[18:19], -v[10:11]
	v_add_f64 v[10:11], v[20:21], -v[12:13]
	v_add_f64 v[8:9], v[8:9], v[16:17]
	v_add_f64 v[2:3], v[6:7], -v[2:3]
	ds_write_b128 v4, v[136:139]
	ds_write_b128 v4, v[0:3] offset:416
	ds_write_b128 v4, v[8:11] offset:832
	;; [unrolled: 1-line block ×6, first 2 shown]
.LBB0_15:
	s_or_b64 exec, exec, s[16:17]
	s_movk_i32 s16, 0xa0
	v_mov_b64_e32 v[0:1], s[0:1]
	v_mad_u64_u32 v[0:1], s[0:1], v160, s16, v[0:1]
	s_waitcnt lgkmcnt(0)
	s_barrier
	global_load_dwordx4 v[148:151], v[0:1], off offset:2880
	global_load_dwordx4 v[144:147], v[0:1], off offset:2896
	;; [unrolled: 1-line block ×4, first 2 shown]
	v_mov_b32_e32 v2, v160
	global_load_dwordx4 v[164:167], v[0:1], off offset:2944
	global_load_dwordx4 v[160:163], v[0:1], off offset:2960
	;; [unrolled: 1-line block ×6, first 2 shown]
	v_lshlrev_b32_e32 v188, 4, v2
	ds_read_b128 v[20:23], v236
	ds_read_b128 v[4:7], v236 offset:2912
	ds_read_b128 v[12:15], v236 offset:5824
	ds_read_b128 v[24:27], v236 offset:8736
	ds_read_b128 v[28:31], v236 offset:11648
	ds_read_b128 v[32:35], v236 offset:14560
	ds_read_b128 v[36:39], v236 offset:17472
	ds_read_b128 v[88:91], v236 offset:20384
	ds_read_b128 v[92:95], v236 offset:23296
	ds_read_b128 v[96:99], v236 offset:26208
	ds_read_b128 v[100:103], v236 offset:29120
	v_lshl_add_u64 v[204:205], s[14:15], 0, v[188:189]
	s_mov_b32 s26, 0xf8bb580b
	s_mov_b32 s18, 0x43842ef
	;; [unrolled: 1-line block ×26, first 2 shown]
	s_waitcnt vmcnt(5) lgkmcnt(5)
	v_mul_f64 v[188:189], v[34:35], v[166:167]
	v_mul_f64 v[104:105], v[6:7], v[150:151]
	;; [unrolled: 1-line block ×6, first 2 shown]
	v_fma_f64 v[104:105], v[4:5], v[148:149], -v[104:105]
	v_fmac_f64_e32 v[106:107], v[6:7], v[148:149]
	v_mul_f64 v[176:177], v[26:27], v[142:143]
	v_mul_f64 v[16:17], v[24:25], v[142:143]
	v_fma_f64 v[124:125], v[12:13], v[144:145], -v[124:125]
	v_fmac_f64_e32 v[126:127], v[14:15], v[144:145]
	v_fma_f64 v[4:5], v[32:33], v[164:165], -v[188:189]
	v_fmac_f64_e32 v[0:1], v[34:35], v[164:165]
	v_add_f64 v[32:33], v[20:21], v[104:105]
	v_add_f64 v[34:35], v[22:23], v[106:107]
	v_mul_f64 v[178:179], v[30:31], v[138:139]
	v_mul_f64 v[8:9], v[28:29], v[138:139]
	v_fma_f64 v[24:25], v[24:25], v[140:141], -v[176:177]
	v_fmac_f64_e32 v[16:17], v[26:27], v[140:141]
	v_add_f64 v[32:33], v[32:33], v[124:125]
	v_add_f64 v[34:35], v[34:35], v[126:127]
	v_fma_f64 v[12:13], v[28:29], v[136:137], -v[178:179]
	v_fmac_f64_e32 v[8:9], v[30:31], v[136:137]
	v_add_f64 v[32:33], v[32:33], v[24:25]
	v_add_f64 v[34:35], v[34:35], v[16:17]
	s_waitcnt vmcnt(4) lgkmcnt(4)
	v_mul_f64 v[190:191], v[38:39], v[162:163]
	v_mul_f64 v[2:3], v[36:37], v[162:163]
	v_add_f64 v[32:33], v[32:33], v[12:13]
	v_add_f64 v[34:35], v[34:35], v[8:9]
	s_waitcnt vmcnt(3) lgkmcnt(3)
	v_mul_f64 v[192:193], v[90:91], v[158:159]
	v_mul_f64 v[10:11], v[88:89], v[158:159]
	v_fma_f64 v[6:7], v[36:37], v[160:161], -v[190:191]
	v_fmac_f64_e32 v[2:3], v[38:39], v[160:161]
	v_add_f64 v[32:33], v[32:33], v[4:5]
	v_add_f64 v[34:35], v[34:35], v[0:1]
	s_waitcnt vmcnt(2) lgkmcnt(2)
	v_mul_f64 v[194:195], v[94:95], v[154:155]
	v_mul_f64 v[18:19], v[92:93], v[154:155]
	v_fma_f64 v[14:15], v[88:89], v[156:157], -v[192:193]
	v_fmac_f64_e32 v[10:11], v[90:91], v[156:157]
	v_add_f64 v[32:33], v[32:33], v[6:7]
	v_add_f64 v[34:35], v[34:35], v[2:3]
	s_waitcnt vmcnt(1) lgkmcnt(1)
	v_mul_f64 v[196:197], v[98:99], v[174:175]
	v_mul_f64 v[198:199], v[96:97], v[174:175]
	s_waitcnt vmcnt(0) lgkmcnt(0)
	v_mul_f64 v[200:201], v[102:103], v[170:171]
	v_mul_f64 v[202:203], v[100:101], v[170:171]
	v_fma_f64 v[26:27], v[92:93], v[152:153], -v[194:195]
	v_fmac_f64_e32 v[18:19], v[94:95], v[152:153]
	v_add_f64 v[32:33], v[32:33], v[14:15]
	v_add_f64 v[34:35], v[34:35], v[10:11]
	v_fma_f64 v[28:29], v[96:97], v[172:173], -v[196:197]
	v_fmac_f64_e32 v[198:199], v[98:99], v[172:173]
	v_fma_f64 v[30:31], v[100:101], v[168:169], -v[200:201]
	v_fmac_f64_e32 v[202:203], v[102:103], v[168:169]
	v_add_f64 v[32:33], v[32:33], v[26:27]
	v_add_f64 v[34:35], v[34:35], v[18:19]
	v_add_f64 v[88:89], v[104:105], -v[30:31]
	v_add_f64 v[90:91], v[106:107], -v[202:203]
	v_add_f64 v[32:33], v[32:33], v[28:29]
	v_add_f64 v[34:35], v[34:35], v[198:199]
	;; [unrolled: 1-line block ×6, first 2 shown]
	v_mul_f64 v[30:31], v[90:91], s[26:27]
	v_mul_f64 v[34:35], v[88:89], s[26:27]
	;; [unrolled: 1-line block ×10, first 2 shown]
	v_fma_f64 v[32:33], v[36:37], s[20:21], -v[30:31]
	v_fma_f64 v[92:93], s[20:21], v[38:39], v[34:35]
	v_fmac_f64_e32 v[30:31], s[20:21], v[36:37]
	v_fma_f64 v[34:35], v[38:39], s[20:21], -v[34:35]
	v_fma_f64 v[96:97], v[36:37], s[0:1], -v[94:95]
	v_fma_f64 v[100:101], s[0:1], v[38:39], v[98:99]
	v_fmac_f64_e32 v[94:95], s[0:1], v[36:37]
	v_fma_f64 v[98:99], v[38:39], s[0:1], -v[98:99]
	v_fma_f64 v[104:105], v[36:37], s[14:15], -v[102:103]
	v_fma_f64 v[176:177], s[14:15], v[38:39], v[106:107]
	v_fmac_f64_e32 v[102:103], s[14:15], v[36:37]
	v_fma_f64 v[106:107], v[38:39], s[14:15], -v[106:107]
	v_fma_f64 v[192:193], v[36:37], s[22:23], -v[178:179]
	v_fma_f64 v[196:197], s[22:23], v[38:39], v[194:195]
	v_fmac_f64_e32 v[178:179], s[22:23], v[36:37]
	v_fma_f64 v[194:195], v[38:39], s[22:23], -v[194:195]
	v_fma_f64 v[200:201], v[36:37], s[28:29], -v[90:91]
	v_fma_f64 v[202:203], s[28:29], v[38:39], v[88:89]
	v_fmac_f64_e32 v[90:91], s[28:29], v[36:37]
	v_fma_f64 v[36:37], v[38:39], s[28:29], -v[88:89]
	v_add_f64 v[88:89], v[126:127], -v[198:199]
	v_add_f64 v[32:33], v[20:21], v[32:33]
	v_add_f64 v[92:93], v[22:23], v[92:93]
	;; [unrolled: 1-line block ×21, first 2 shown]
	v_mul_f64 v[90:91], v[88:89], s[16:17]
	v_add_f64 v[28:29], v[124:125], -v[28:29]
	v_fma_f64 v[124:125], v[36:37], s[0:1], -v[90:91]
	v_add_f64 v[38:39], v[126:127], v[198:199]
	v_add_f64 v[32:33], v[124:125], v[32:33]
	v_mul_f64 v[124:125], v[28:29], s[16:17]
	v_fmac_f64_e32 v[90:91], s[0:1], v[36:37]
	v_add_f64 v[30:31], v[90:91], v[30:31]
	v_fma_f64 v[90:91], v[38:39], s[0:1], -v[124:125]
	v_add_f64 v[34:35], v[90:91], v[34:35]
	v_mul_f64 v[90:91], v[88:89], s[24:25]
	v_fma_f64 v[126:127], s[0:1], v[38:39], v[124:125]
	v_fma_f64 v[124:125], v[36:37], s[22:23], -v[90:91]
	v_add_f64 v[96:97], v[124:125], v[96:97]
	v_mul_f64 v[124:125], v[28:29], s[24:25]
	v_fmac_f64_e32 v[90:91], s[22:23], v[36:37]
	v_add_f64 v[90:91], v[90:91], v[94:95]
	v_fma_f64 v[94:95], v[38:39], s[22:23], -v[124:125]
	v_add_f64 v[94:95], v[94:95], v[98:99]
	v_mul_f64 v[98:99], v[88:89], s[38:39]
	v_add_f64 v[92:93], v[126:127], v[92:93]
	v_fma_f64 v[126:127], s[22:23], v[38:39], v[124:125]
	v_fma_f64 v[124:125], v[36:37], s[28:29], -v[98:99]
	v_add_f64 v[104:105], v[124:125], v[104:105]
	v_mul_f64 v[124:125], v[28:29], s[38:39]
	v_fmac_f64_e32 v[98:99], s[28:29], v[36:37]
	v_add_f64 v[98:99], v[98:99], v[102:103]
	v_fma_f64 v[102:103], v[38:39], s[28:29], -v[124:125]
	v_add_f64 v[100:101], v[126:127], v[100:101]
	v_fma_f64 v[126:127], s[28:29], v[38:39], v[124:125]
	v_add_f64 v[102:103], v[102:103], v[106:107]
	v_mul_f64 v[106:107], v[88:89], s[36:37]
	v_add_f64 v[126:127], v[126:127], v[176:177]
	v_fma_f64 v[124:125], v[36:37], s[14:15], -v[106:107]
	v_mul_f64 v[176:177], v[28:29], s[36:37]
	v_add_f64 v[124:125], v[124:125], v[192:193]
	v_fma_f64 v[192:193], s[14:15], v[38:39], v[176:177]
	v_fmac_f64_e32 v[106:107], s[14:15], v[36:37]
	v_fma_f64 v[176:177], v[38:39], s[14:15], -v[176:177]
	v_mul_f64 v[88:89], v[88:89], s[34:35]
	v_mul_f64 v[28:29], v[28:29], s[34:35]
	v_add_f64 v[106:107], v[106:107], v[178:179]
	v_add_f64 v[176:177], v[176:177], v[194:195]
	v_fma_f64 v[178:179], v[36:37], s[20:21], -v[88:89]
	v_fma_f64 v[194:195], s[20:21], v[38:39], v[28:29]
	v_fmac_f64_e32 v[88:89], s[20:21], v[36:37]
	v_fma_f64 v[28:29], v[38:39], s[20:21], -v[28:29]
	v_add_f64 v[36:37], v[16:17], v[18:19]
	v_add_f64 v[16:17], v[16:17], -v[18:19]
	v_add_f64 v[22:23], v[28:29], v[22:23]
	v_add_f64 v[28:29], v[24:25], v[26:27]
	v_mul_f64 v[18:19], v[16:17], s[18:19]
	v_add_f64 v[24:25], v[24:25], -v[26:27]
	v_fma_f64 v[26:27], v[28:29], s[14:15], -v[18:19]
	v_add_f64 v[26:27], v[26:27], v[32:33]
	v_mul_f64 v[32:33], v[24:25], s[18:19]
	v_fmac_f64_e32 v[18:19], s[14:15], v[28:29]
	v_fma_f64 v[38:39], s[14:15], v[36:37], v[32:33]
	v_add_f64 v[18:19], v[18:19], v[30:31]
	v_fma_f64 v[30:31], v[36:37], s[14:15], -v[32:33]
	v_mul_f64 v[32:33], v[16:17], s[38:39]
	v_add_f64 v[20:21], v[88:89], v[20:21]
	v_add_f64 v[30:31], v[30:31], v[34:35]
	v_fma_f64 v[34:35], v[28:29], s[28:29], -v[32:33]
	v_mul_f64 v[88:89], v[24:25], s[38:39]
	v_fmac_f64_e32 v[32:33], s[28:29], v[28:29]
	s_mov_b32 s17, 0x3fed1bb4
	v_add_f64 v[38:39], v[38:39], v[92:93]
	v_fma_f64 v[92:93], s[28:29], v[36:37], v[88:89]
	v_add_f64 v[32:33], v[32:33], v[90:91]
	v_fma_f64 v[88:89], v[36:37], s[28:29], -v[88:89]
	v_mul_f64 v[90:91], v[16:17], s[16:17]
	v_add_f64 v[34:35], v[34:35], v[96:97]
	v_add_f64 v[88:89], v[88:89], v[94:95]
	v_fma_f64 v[94:95], v[28:29], s[0:1], -v[90:91]
	v_mul_f64 v[96:97], v[24:25], s[16:17]
	v_fmac_f64_e32 v[90:91], s[0:1], v[28:29]
	v_add_f64 v[92:93], v[92:93], v[100:101]
	v_fma_f64 v[100:101], s[0:1], v[36:37], v[96:97]
	v_add_f64 v[90:91], v[90:91], v[98:99]
	v_fma_f64 v[96:97], v[36:37], s[0:1], -v[96:97]
	v_mul_f64 v[98:99], v[16:17], s[26:27]
	v_add_f64 v[96:97], v[96:97], v[102:103]
	v_fma_f64 v[102:103], v[28:29], s[20:21], -v[98:99]
	v_fmac_f64_e32 v[98:99], s[20:21], v[28:29]
	v_mul_f64 v[16:17], v[16:17], s[24:25]
	v_add_f64 v[94:95], v[94:95], v[104:105]
	v_mul_f64 v[104:105], v[24:25], s[26:27]
	v_add_f64 v[98:99], v[98:99], v[106:107]
	v_fma_f64 v[106:107], v[28:29], s[22:23], -v[16:17]
	v_mul_f64 v[24:25], v[24:25], s[24:25]
	v_fmac_f64_e32 v[16:17], s[22:23], v[28:29]
	v_add_f64 v[100:101], v[100:101], v[126:127]
	v_fma_f64 v[126:127], s[22:23], v[36:37], v[24:25]
	v_add_f64 v[16:17], v[16:17], v[20:21]
	v_fma_f64 v[20:21], v[36:37], s[22:23], -v[24:25]
	v_add_f64 v[24:25], v[8:9], v[10:11]
	v_add_f64 v[8:9], v[8:9], -v[10:11]
	v_add_f64 v[20:21], v[20:21], v[22:23]
	v_add_f64 v[22:23], v[12:13], v[14:15]
	v_mul_f64 v[10:11], v[8:9], s[24:25]
	v_add_f64 v[12:13], v[12:13], -v[14:15]
	v_fma_f64 v[14:15], v[22:23], s[22:23], -v[10:11]
	v_add_f64 v[14:15], v[14:15], v[26:27]
	v_mul_f64 v[26:27], v[12:13], s[24:25]
	v_fmac_f64_e32 v[10:11], s[22:23], v[22:23]
	v_fma_f64 v[28:29], s[22:23], v[24:25], v[26:27]
	v_add_f64 v[10:11], v[10:11], v[18:19]
	v_fma_f64 v[18:19], v[24:25], s[22:23], -v[26:27]
	v_mul_f64 v[26:27], v[8:9], s[36:37]
	v_add_f64 v[18:19], v[18:19], v[30:31]
	v_fma_f64 v[30:31], v[22:23], s[14:15], -v[26:27]
	v_add_f64 v[30:31], v[30:31], v[34:35]
	v_mul_f64 v[34:35], v[12:13], s[36:37]
	v_fmac_f64_e32 v[26:27], s[14:15], v[22:23]
	v_add_f64 v[26:27], v[26:27], v[32:33]
	v_fma_f64 v[32:33], v[24:25], s[14:15], -v[34:35]
	v_add_f64 v[102:103], v[102:103], v[124:125]
	v_fma_f64 v[124:125], s[20:21], v[36:37], v[104:105]
	v_fma_f64 v[104:105], v[36:37], s[20:21], -v[104:105]
	v_fma_f64 v[36:37], s[14:15], v[24:25], v[34:35]
	v_add_f64 v[32:33], v[32:33], v[88:89]
	v_mul_f64 v[34:35], v[8:9], s[26:27]
	v_mul_f64 v[88:89], v[12:13], s[26:27]
	v_add_f64 v[28:29], v[28:29], v[38:39]
	v_add_f64 v[36:37], v[36:37], v[92:93]
	v_fma_f64 v[38:39], v[22:23], s[20:21], -v[34:35]
	v_fma_f64 v[92:93], s[20:21], v[24:25], v[88:89]
	v_fmac_f64_e32 v[34:35], s[20:21], v[22:23]
	v_fma_f64 v[88:89], v[24:25], s[20:21], -v[88:89]
	v_add_f64 v[192:193], v[192:193], v[196:197]
	v_add_f64 v[178:179], v[178:179], v[200:201]
	;; [unrolled: 1-line block ×4, first 2 shown]
	v_mul_f64 v[90:91], v[8:9], s[30:31]
	v_mul_f64 v[96:97], v[12:13], s[30:31]
	v_add_f64 v[194:195], v[194:195], v[202:203]
	v_add_f64 v[124:125], v[124:125], v[192:193]
	;; [unrolled: 1-line block ×5, first 2 shown]
	v_fma_f64 v[94:95], v[22:23], s[28:29], -v[90:91]
	v_fma_f64 v[100:101], s[28:29], v[24:25], v[96:97]
	v_fmac_f64_e32 v[90:91], s[28:29], v[22:23]
	v_mul_f64 v[8:9], v[8:9], s[16:17]
	v_mul_f64 v[12:13], v[12:13], s[16:17]
	v_add_f64 v[178:179], v[0:1], -v[2:3]
	v_add_f64 v[104:105], v[104:105], v[176:177]
	v_add_f64 v[126:127], v[126:127], v[194:195]
	;; [unrolled: 1-line block ×5, first 2 shown]
	v_fma_f64 v[96:97], v[24:25], s[28:29], -v[96:97]
	v_fma_f64 v[98:99], v[22:23], s[0:1], -v[8:9]
	v_fma_f64 v[102:103], s[0:1], v[24:25], v[12:13]
	v_fmac_f64_e32 v[8:9], s[0:1], v[22:23]
	v_add_f64 v[124:125], v[4:5], v[6:7]
	v_add_f64 v[176:177], v[4:5], -v[6:7]
	v_mul_f64 v[4:5], v[178:179], s[30:31]
	v_add_f64 v[96:97], v[96:97], v[104:105]
	v_add_f64 v[102:103], v[102:103], v[126:127]
	;; [unrolled: 1-line block ×3, first 2 shown]
	v_fma_f64 v[8:9], v[24:25], s[0:1], -v[12:13]
	v_add_f64 v[126:127], v[0:1], v[2:3]
	v_fma_f64 v[0:1], v[124:125], s[28:29], -v[4:5]
	v_mul_f64 v[6:7], v[176:177], s[30:31]
	v_fmac_f64_e32 v[4:5], s[28:29], v[124:125]
	v_add_f64 v[98:99], v[98:99], v[106:107]
	v_add_f64 v[106:107], v[8:9], v[20:21]
	;; [unrolled: 1-line block ×3, first 2 shown]
	v_fma_f64 v[4:5], v[126:127], s[28:29], -v[6:7]
	v_mul_f64 v[8:9], v[178:179], s[34:35]
	v_mul_f64 v[10:11], v[176:177], s[34:35]
	;; [unrolled: 1-line block ×3, first 2 shown]
	v_fma_f64 v[2:3], s[28:29], v[126:127], v[6:7]
	v_add_f64 v[194:195], v[4:5], v[18:19]
	v_fma_f64 v[4:5], v[124:125], s[20:21], -v[8:9]
	v_fma_f64 v[6:7], s[20:21], v[126:127], v[10:11]
	v_fmac_f64_e32 v[8:9], s[20:21], v[124:125]
	v_fma_f64 v[10:11], v[126:127], s[20:21], -v[10:11]
	v_fma_f64 v[12:13], v[124:125], s[22:23], -v[16:17]
	v_fmac_f64_e32 v[16:17], s[22:23], v[124:125]
	v_add_f64 v[8:9], v[8:9], v[26:27]
	v_add_f64 v[10:11], v[10:11], v[32:33]
	v_mul_f64 v[18:19], v[176:177], s[24:25]
	v_add_f64 v[16:17], v[16:17], v[34:35]
	v_mul_f64 v[24:25], v[178:179], s[16:17]
	v_mul_f64 v[26:27], v[176:177], s[16:17]
	;; [unrolled: 1-line block ×4, first 2 shown]
	v_add_f64 v[0:1], v[0:1], v[14:15]
	v_add_f64 v[2:3], v[2:3], v[28:29]
	;; [unrolled: 1-line block ×3, first 2 shown]
	v_fma_f64 v[14:15], s[22:23], v[126:127], v[18:19]
	v_fma_f64 v[18:19], v[126:127], s[22:23], -v[18:19]
	v_fma_f64 v[20:21], v[124:125], s[0:1], -v[24:25]
	v_fma_f64 v[22:23], s[0:1], v[126:127], v[26:27]
	v_fmac_f64_e32 v[24:25], s[0:1], v[124:125]
	v_fma_f64 v[26:27], v[126:127], s[0:1], -v[26:27]
	v_fma_f64 v[28:29], v[124:125], s[14:15], -v[32:33]
	v_fma_f64 v[30:31], s[14:15], v[126:127], v[34:35]
	v_fmac_f64_e32 v[32:33], s[14:15], v[124:125]
	v_fma_f64 v[34:35], v[126:127], s[14:15], -v[34:35]
	s_movk_i32 s14, 0x7000
	v_add_f64 v[6:7], v[6:7], v[36:37]
	v_add_f64 v[12:13], v[12:13], v[38:39]
	;; [unrolled: 1-line block ×12, first 2 shown]
	ds_write_b128 v236, v[188:191]
	ds_write_b128 v236, v[0:3] offset:2912
	ds_write_b128 v236, v[4:7] offset:5824
	;; [unrolled: 1-line block ×10, first 2 shown]
	v_add_co_u32_e32 v0, vcc, s14, v204
	s_mov_b32 s0, 0xb000
	s_nop 0
	v_addc_co_u32_e32 v1, vcc, 0, v205, vcc
	s_waitcnt lgkmcnt(0)
	s_barrier
	global_load_dwordx4 v[188:191], v[0:1], off offset:3360
	v_add_co_u32_e32 v0, vcc, s0, v204
	s_mov_b64 s[0:1], 0x7d20
	s_nop 0
	v_addc_co_u32_e32 v1, vcc, 0, v205, vcc
	global_load_dwordx4 v[196:199], v[0:1], off offset:2992
	v_lshl_add_u64 v[0:1], v[204:205], 0, s[0:1]
	global_load_dwordx4 v[200:203], v[0:1], off offset:2912
	s_mov_b32 s0, 0xc000
	v_add_co_u32_e32 v2, vcc, s0, v204
	s_mov_b32 s0, 0x9000
	s_nop 0
	v_addc_co_u32_e32 v3, vcc, 0, v205, vcc
	global_load_dwordx4 v[2:5], v[2:3], off offset:1808
	v_add_co_u32_e32 v14, vcc, s0, v204
	s_mov_b32 s0, 0xd000
	s_nop 0
	v_addc_co_u32_e32 v15, vcc, 0, v205, vcc
	global_load_dwordx4 v[6:9], v[14:15], off offset:992
	;; [unrolled: 5-line block ×3, first 2 shown]
	s_nop 0
	global_load_dwordx4 v[14:17], v[14:15], off offset:3904
	s_nop 0
	global_load_dwordx4 v[18:21], v[18:19], off offset:3536
	v_add_co_u32_e32 v22, vcc, s0, v204
	s_mov_b32 s0, 0xe000
	s_nop 0
	v_addc_co_u32_e32 v23, vcc, 0, v205, vcc
	global_load_dwordx4 v[22:25], v[22:23], off offset:2720
	v_add_co_u32_e32 v26, vcc, s0, v204
	s_nop 1
	v_addc_co_u32_e32 v27, vcc, 0, v205, vcc
	global_load_dwordx4 v[26:29], v[26:27], off offset:2352
	ds_read_b128 v[30:33], v236
	ds_read_b128 v[34:37], v236 offset:2912
	ds_read_b128 v[92:95], v236 offset:16016
	;; [unrolled: 1-line block ×3, first 2 shown]
	s_waitcnt vmcnt(9) lgkmcnt(3)
	v_mul_f64 v[38:39], v[32:33], v[190:191]
	v_mul_f64 v[90:91], v[30:31], v[190:191]
	v_fma_f64 v[88:89], v[30:31], v[188:189], -v[38:39]
	v_fmac_f64_e32 v[90:91], v[32:33], v[188:189]
	ds_write_b128 v236, v[88:91]
	ds_read_b128 v[30:33], v236 offset:11648
	s_waitcnt vmcnt(8) lgkmcnt(3)
	v_mul_f64 v[38:39], v[94:95], v[198:199]
	v_mul_f64 v[90:91], v[92:93], v[198:199]
	v_fma_f64 v[88:89], v[92:93], v[196:197], -v[38:39]
	v_fmac_f64_e32 v[90:91], v[94:95], v[196:197]
	ds_read_b128 v[92:95], v236 offset:18928
	ds_write_b128 v236, v[88:91] offset:16016
	s_waitcnt vmcnt(7)
	v_mul_f64 v[38:39], v[36:37], v[202:203]
	v_mul_f64 v[90:91], v[34:35], v[202:203]
	v_fma_f64 v[88:89], v[34:35], v[200:201], -v[38:39]
	v_fmac_f64_e32 v[90:91], v[36:37], v[200:201]
	ds_read_b128 v[34:37], v236 offset:21840
	ds_write_b128 v236, v[88:91] offset:2912
	s_waitcnt vmcnt(6) lgkmcnt(3)
	v_mul_f64 v[38:39], v[94:95], v[4:5]
	v_mul_f64 v[90:91], v[92:93], v[4:5]
	v_fma_f64 v[88:89], v[92:93], v[2:3], -v[38:39]
	v_fmac_f64_e32 v[90:91], v[94:95], v[2:3]
	ds_write_b128 v236, v[88:91] offset:18928
	ds_read_b128 v[2:5], v236 offset:8736
	s_waitcnt vmcnt(5)
	v_mul_f64 v[38:39], v[98:99], v[8:9]
	v_mul_f64 v[90:91], v[96:97], v[8:9]
	v_fma_f64 v[88:89], v[96:97], v[6:7], -v[38:39]
	v_fmac_f64_e32 v[90:91], v[98:99], v[6:7]
	s_waitcnt vmcnt(4) lgkmcnt(3)
	v_mul_f64 v[6:7], v[36:37], v[12:13]
	v_mul_f64 v[8:9], v[34:35], v[12:13]
	v_fma_f64 v[6:7], v[34:35], v[10:11], -v[6:7]
	v_fmac_f64_e32 v[8:9], v[36:37], v[10:11]
	ds_read_b128 v[10:13], v236 offset:24752
	ds_write_b128 v236, v[6:9] offset:21840
	s_waitcnt vmcnt(3) lgkmcnt(2)
	v_mul_f64 v[6:7], v[4:5], v[16:17]
	v_mul_f64 v[8:9], v[2:3], v[16:17]
	v_fma_f64 v[6:7], v[2:3], v[14:15], -v[6:7]
	v_fmac_f64_e32 v[8:9], v[4:5], v[14:15]
	ds_read_b128 v[2:5], v236 offset:27664
	ds_write_b128 v236, v[6:9] offset:8736
	s_waitcnt vmcnt(2) lgkmcnt(3)
	v_mul_f64 v[6:7], v[12:13], v[20:21]
	v_mul_f64 v[8:9], v[10:11], v[20:21]
	v_fma_f64 v[6:7], v[10:11], v[18:19], -v[6:7]
	v_fmac_f64_e32 v[8:9], v[12:13], v[18:19]
	ds_write_b128 v236, v[6:9] offset:24752
	s_waitcnt vmcnt(1)
	v_mul_f64 v[6:7], v[32:33], v[24:25]
	v_mul_f64 v[8:9], v[30:31], v[24:25]
	v_fma_f64 v[6:7], v[30:31], v[22:23], -v[6:7]
	v_fmac_f64_e32 v[8:9], v[32:33], v[22:23]
	ds_write_b128 v236, v[6:9] offset:11648
	s_waitcnt vmcnt(0) lgkmcnt(3)
	v_mul_f64 v[6:7], v[4:5], v[28:29]
	v_mul_f64 v[8:9], v[2:3], v[28:29]
	v_fma_f64 v[6:7], v[2:3], v[26:27], -v[6:7]
	v_fmac_f64_e32 v[8:9], v[4:5], v[26:27]
	ds_write_b128 v236, v[88:91] offset:5824
	ds_write_b128 v236, v[6:9] offset:27664
	s_and_saveexec_b64 s[0:1], s[6:7]
	s_cbranch_execz .LBB0_17
; %bb.16:
	v_add_co_u32_e32 v2, vcc, 0x3000, v0
	s_nop 1
	v_addc_co_u32_e32 v3, vcc, 0, v1, vcc
	v_add_co_u32_e32 v0, vcc, s14, v0
	global_load_dwordx4 v[2:5], v[2:3], off offset:2272
	s_nop 0
	v_addc_co_u32_e32 v1, vcc, 0, v1, vcc
	global_load_dwordx4 v[6:9], v[0:1], off offset:1904
	ds_read_b128 v[10:13], v236 offset:14560
	ds_read_b128 v[14:17], v236 offset:30576
	s_waitcnt vmcnt(1) lgkmcnt(1)
	v_mul_f64 v[0:1], v[12:13], v[4:5]
	v_mul_f64 v[20:21], v[10:11], v[4:5]
	v_fma_f64 v[18:19], v[10:11], v[2:3], -v[0:1]
	s_waitcnt vmcnt(0) lgkmcnt(0)
	v_mul_f64 v[22:23], v[16:17], v[8:9]
	v_mul_f64 v[4:5], v[14:15], v[8:9]
	v_fmac_f64_e32 v[20:21], v[12:13], v[2:3]
	v_fma_f64 v[2:3], v[14:15], v[6:7], -v[22:23]
	v_fmac_f64_e32 v[4:5], v[16:17], v[6:7]
	ds_write_b128 v236, v[18:21] offset:14560
	ds_write_b128 v236, v[2:5] offset:30576
.LBB0_17:
	s_or_b64 exec, exec, s[0:1]
	s_waitcnt lgkmcnt(0)
	s_barrier
	ds_read_b128 v[188:191], v236
	ds_read_b128 v[204:207], v236 offset:2912
	ds_read_b128 v[200:203], v236 offset:18928
	;; [unrolled: 1-line block ×9, first 2 shown]
	v_accvgpr_read_b32 v0, a49
	v_add_u32_e32 v2, 0x2d80, v0
	v_add_u32_e32 v1, 0x4440, v0
	;; [unrolled: 1-line block ×3, first 2 shown]
	s_and_saveexec_b64 s[0:1], s[6:7]
	s_cbranch_execz .LBB0_19
; %bb.18:
	ds_read_b128 v[192:195], v236 offset:14560
	ds_read_b128 v[184:187], v236 offset:30576
.LBB0_19:
	s_or_b64 exec, exec, s[0:1]
	s_waitcnt lgkmcnt(3)
	v_add_f64 v[196:197], v[188:189], -v[196:197]
	v_add_f64 v[198:199], v[190:191], -v[198:199]
	v_fma_f64 v[188:189], v[188:189], 2.0, -v[196:197]
	v_fma_f64 v[190:191], v[190:191], 2.0, -v[198:199]
	v_add_f64 v[200:201], v[204:205], -v[200:201]
	v_add_f64 v[202:203], v[206:207], -v[202:203]
	;; [unrolled: 1-line block ×4, first 2 shown]
	s_waitcnt lgkmcnt(1)
	v_add_f64 v[216:217], v[220:221], -v[216:217]
	v_add_f64 v[218:219], v[222:223], -v[218:219]
	s_waitcnt lgkmcnt(0)
	v_add_f64 v[224:225], v[228:229], -v[224:225]
	v_add_f64 v[226:227], v[230:231], -v[226:227]
	v_add_f64 v[232:233], v[192:193], -v[184:185]
	v_add_f64 v[234:235], v[194:195], -v[186:187]
	v_accvgpr_read_b32 v3, a47
	v_fma_f64 v[204:205], v[204:205], 2.0, -v[200:201]
	v_fma_f64 v[206:207], v[206:207], 2.0, -v[202:203]
	;; [unrolled: 1-line block ×10, first 2 shown]
	s_barrier
	ds_write_b128 v3, v[188:191]
	ds_write_b128 v3, v[196:199] offset:16
	v_accvgpr_read_b32 v3, a48
	ds_write_b128 v3, v[204:207]
	ds_write_b128 v3, v[200:203] offset:16
	ds_write_b128 v2, v[212:215]
	ds_write_b128 v2, v[208:211] offset:16
	;; [unrolled: 2-line block ×4, first 2 shown]
	s_and_saveexec_b64 s[0:1], s[6:7]
	s_cbranch_execz .LBB0_21
; %bb.20:
	v_accvgpr_read_b32 v0, a33
	ds_write_b128 v0, v[184:187]
	ds_write_b128 v0, v[232:235] offset:16
.LBB0_21:
	s_or_b64 exec, exec, s[0:1]
	s_waitcnt lgkmcnt(0)
	s_barrier
	s_and_saveexec_b64 s[0:1], s[2:3]
	s_cbranch_execz .LBB0_23
; %bb.22:
	ds_read_b128 v[188:191], v236
	ds_read_b128 v[196:199], v236 offset:2464
	ds_read_b128 v[204:207], v236 offset:4928
	;; [unrolled: 1-line block ×12, first 2 shown]
.LBB0_23:
	s_or_b64 exec, exec, s[0:1]
	s_waitcnt lgkmcnt(11)
	v_mul_f64 v[0:1], v[54:55], v[196:197]
	v_fma_f64 v[2:3], v[52:53], v[198:199], -v[0:1]
	s_waitcnt lgkmcnt(10)
	v_mul_f64 v[194:195], v[50:51], v[206:207]
	v_mul_f64 v[0:1], v[50:51], v[204:205]
	;; [unrolled: 1-line block ×3, first 2 shown]
	v_fmac_f64_e32 v[194:195], v[48:49], v[204:205]
	v_fma_f64 v[48:49], v[48:49], v[206:207], -v[0:1]
	s_waitcnt lgkmcnt(9)
	v_mul_f64 v[0:1], v[46:47], v[200:201]
	v_fmac_f64_e32 v[192:193], v[52:53], v[196:197]
	v_mul_f64 v[196:197], v[46:47], v[202:203]
	v_fma_f64 v[46:47], v[44:45], v[202:203], -v[0:1]
	s_waitcnt lgkmcnt(8)
	v_mul_f64 v[0:1], v[42:43], v[212:213]
	v_fma_f64 v[90:91], v[40:41], v[214:215], -v[0:1]
	s_waitcnt lgkmcnt(7)
	;; [unrolled: 3-line block ×5, first 2 shown]
	v_mul_f64 v[0:1], v[58:59], v[228:229]
	v_fmac_f64_e32 v[196:197], v[44:45], v[200:201]
	v_mul_f64 v[200:201], v[70:71], v[210:211]
	v_mul_f64 v[70:71], v[62:63], v[218:219]
	v_fma_f64 v[104:105], v[56:57], v[230:231], -v[0:1]
	s_waitcnt lgkmcnt(3)
	v_mul_f64 v[0:1], v[86:87], v[224:225]
	v_fmac_f64_e32 v[70:71], v[60:61], v[216:217]
	v_fma_f64 v[60:61], v[84:85], v[226:227], -v[0:1]
	s_waitcnt lgkmcnt(2)
	v_mul_f64 v[0:1], v[82:83], v[184:185]
	v_mul_f64 v[198:199], v[42:43], v[214:215]
	v_fmac_f64_e32 v[200:201], v[68:69], v[208:209]
	v_mul_f64 v[208:209], v[86:87], v[226:227]
	v_fma_f64 v[50:51], v[80:81], v[186:187], -v[0:1]
	s_waitcnt lgkmcnt(1)
	v_mul_f64 v[0:1], v[78:79], v[232:233]
	v_fmac_f64_e32 v[198:199], v[40:41], v[212:213]
	v_fmac_f64_e32 v[208:209], v[84:85], v[224:225]
	v_mul_f64 v[84:85], v[82:83], v[186:187]
	v_fma_f64 v[40:41], v[76:77], v[234:235], -v[0:1]
	s_waitcnt lgkmcnt(0)
	v_mul_f64 v[0:1], v[74:75], v[180:181]
	v_fmac_f64_e32 v[84:85], v[80:81], v[184:185]
	v_mul_f64 v[80:81], v[78:79], v[234:235]
	v_fma_f64 v[8:9], v[72:73], v[182:183], -v[0:1]
	v_accvgpr_write_b32 a49, v3
	s_mov_b32 s16, 0x42a4c3d2
	v_fmac_f64_e32 v[80:81], v[76:77], v[232:233]
	v_mul_f64 v[76:77], v[74:75], v[182:183]
	v_add_f64 v[0:1], v[2:3], v[8:9]
	v_accvgpr_write_b32 a48, v2
	v_add_f64 v[2:3], v[2:3], -v[8:9]
	s_mov_b32 s17, 0xbfea55e2
	v_fmac_f64_e32 v[76:77], v[72:73], v[180:181]
	s_mov_b32 s14, 0x1ea71119
	v_mul_f64 v[12:13], v[2:3], s[16:17]
	v_add_f64 v[4:5], v[192:193], v[76:77]
	s_mov_b32 s15, 0x3fe22d96
	v_accvgpr_write_b32 a107, v13
	v_add_f64 v[6:7], v[192:193], -v[76:77]
	v_mul_f64 v[16:17], v[0:1], s[14:15]
	v_accvgpr_write_b32 a106, v12
	v_fma_f64 v[12:13], v[4:5], s[14:15], -v[12:13]
	s_mov_b32 s28, 0x66966769
	v_add_f64 v[14:15], v[188:189], v[12:13]
	v_accvgpr_write_b32 a109, v17
	v_fma_f64 v[12:13], s[16:17], v[6:7], v[16:17]
	s_mov_b32 s29, 0xbfefc445
	v_accvgpr_write_b32 a108, v16
	v_add_f64 v[16:17], v[190:191], v[12:13]
	s_mov_b32 s18, 0xebaa3ed8
	v_mul_f64 v[12:13], v[2:3], s[28:29]
	s_mov_b32 s19, 0x3fbedb7d
	v_accvgpr_write_b32 a111, v13
	v_mul_f64 v[20:21], v[0:1], s[18:19]
	v_accvgpr_write_b32 a110, v12
	v_fma_f64 v[12:13], v[4:5], s[18:19], -v[12:13]
	s_mov_b32 s30, 0x2ef20147
	v_add_f64 v[18:19], v[188:189], v[12:13]
	v_accvgpr_write_b32 a115, v21
	v_fma_f64 v[12:13], s[28:29], v[6:7], v[20:21]
	s_mov_b32 s31, 0xbfedeba7
	v_accvgpr_write_b32 a114, v20
	v_add_f64 v[20:21], v[190:191], v[12:13]
	s_mov_b32 s34, 0xb2365da1
	v_mul_f64 v[12:13], v[2:3], s[30:31]
	s_mov_b32 s35, 0xbfd6b1d8
	v_accvgpr_write_b32 a121, v13
	v_mul_f64 v[24:25], v[0:1], s[34:35]
	v_accvgpr_write_b32 a120, v12
	v_fma_f64 v[12:13], v[4:5], s[34:35], -v[12:13]
	s_mov_b32 s22, 0x24c2f84
	s_mov_b32 s26, 0x93053d00
	s_mov_b32 s44, 0x4267c47c
	v_add_f64 v[22:23], v[188:189], v[12:13]
	v_accvgpr_write_b32 a131, v25
	v_fma_f64 v[12:13], s[30:31], v[6:7], v[24:25]
	s_mov_b32 s20, 0xd0032e0c
	s_mov_b32 s23, 0xbfe5384d
	;; [unrolled: 1-line block ×4, first 2 shown]
	v_mul_f64 v[68:69], v[66:67], v[222:223]
	v_accvgpr_write_b32 a101, v9
	s_mov_b32 s0, 0xe00740e9
	s_mov_b32 s45, 0xbfddbe06
	v_accvgpr_write_b32 a130, v24
	v_add_f64 v[24:25], v[190:191], v[12:13]
	s_mov_b32 s21, 0xbfe7f3cc
	v_mul_f64 v[12:13], v[2:3], s[22:23]
	s_mov_b32 s25, 0xbfcea1e5
	v_mul_f64 v[66:67], v[0:1], s[26:27]
	v_accvgpr_write_b32 a99, v41
	v_fmac_f64_e32 v[68:69], v[64:65], v[220:221]
	v_accvgpr_write_b32 a100, v8
	s_mov_b32 s1, 0x3fec55a7
	v_mul_f64 v[8:9], v[2:3], s[44:45]
	v_mul_f64 v[34:35], v[0:1], s[20:21]
	v_fma_f64 v[26:27], v[4:5], s[20:21], -v[12:13]
	v_mul_f64 v[64:65], v[2:3], s[24:25]
	v_fma_f64 v[2:3], s[24:25], v[6:7], v[66:67]
	v_add_f64 v[38:39], v[48:49], v[40:41]
	v_accvgpr_write_b32 a98, v40
	v_add_f64 v[40:41], v[48:49], -v[40:41]
	v_mul_f64 v[10:11], v[0:1], s[0:1]
	v_accvgpr_write_b32 a103, v9
	v_add_f64 v[30:31], v[188:189], v[26:27]
	v_fma_f64 v[26:27], s[22:23], v[6:7], v[34:35]
	v_add_f64 v[36:37], v[190:191], v[2:3]
	v_mul_f64 v[2:3], v[40:41], s[16:17]
	v_accvgpr_write_b32 a102, v8
	v_fma_f64 v[8:9], v[4:5], s[0:1], -v[8:9]
	v_accvgpr_write_b32 a105, v11
	v_add_f64 v[32:33], v[190:191], v[26:27]
	v_add_f64 v[26:27], v[194:195], v[80:81]
	v_accvgpr_write_b32 a113, v3
	v_add_f64 v[8:9], v[188:189], v[8:9]
	v_accvgpr_write_b32 a104, v10
	v_fma_f64 v[10:11], s[44:45], v[6:7], v[10:11]
	v_add_f64 v[28:29], v[194:195], -v[80:81]
	v_mul_f64 v[42:43], v[38:39], s[14:15]
	v_accvgpr_write_b32 a112, v2
	v_fma_f64 v[2:3], v[26:27], s[14:15], -v[2:3]
	v_add_f64 v[10:11], v[190:191], v[10:11]
	v_add_f64 v[8:9], v[2:3], v[8:9]
	v_fma_f64 v[2:3], s[16:17], v[28:29], v[42:43]
	v_add_f64 v[10:11], v[2:3], v[10:11]
	v_mul_f64 v[2:3], v[40:41], s[30:31]
	v_accvgpr_write_b32 a117, v43
	v_accvgpr_write_b32 a119, v3
	;; [unrolled: 1-line block ×3, first 2 shown]
	v_mul_f64 v[42:43], v[38:39], s[34:35]
	v_accvgpr_write_b32 a118, v2
	v_fma_f64 v[2:3], v[26:27], s[34:35], -v[2:3]
	v_add_f64 v[14:15], v[2:3], v[14:15]
	v_fma_f64 v[2:3], s[30:31], v[28:29], v[42:43]
	v_add_f64 v[16:17], v[2:3], v[16:17]
	v_mul_f64 v[2:3], v[40:41], s[24:25]
	v_accvgpr_write_b32 a127, v3
	v_accvgpr_write_b32 a123, v43
	v_mul_f64 v[44:45], v[38:39], s[26:27]
	v_accvgpr_write_b32 a126, v2
	v_fma_f64 v[2:3], v[26:27], s[26:27], -v[2:3]
	v_accvgpr_write_b32 a122, v42
	v_add_f64 v[42:43], v[2:3], v[18:19]
	v_fma_f64 v[2:3], s[24:25], v[28:29], v[44:45]
	s_mov_b32 s43, 0x3fe5384d
	s_mov_b32 s42, s22
	v_accvgpr_write_b32 a133, v45
	v_add_f64 v[20:21], v[2:3], v[20:21]
	v_mul_f64 v[2:3], v[40:41], s[42:43]
	v_accvgpr_write_b32 a132, v44
	v_mul_f64 v[18:19], v[38:39], s[20:21]
	v_fma_f64 v[44:45], v[26:27], s[20:21], -v[2:3]
	s_mov_b32 s39, 0x3fefc445
	s_mov_b32 s38, s28
	v_add_f64 v[22:23], v[44:45], v[22:23]
	v_fma_f64 v[44:45], s[42:43], v[28:29], v[18:19]
	v_mul_f64 v[240:241], v[40:41], s[38:39]
	v_add_f64 v[44:45], v[44:45], v[24:25]
	v_mul_f64 v[100:101], v[38:39], s[18:19]
	v_fma_f64 v[24:25], v[26:27], s[18:19], -v[240:241]
	s_mov_b32 s37, 0x3fddbe06
	s_mov_b32 s36, s44
	v_fma_f64 v[0:1], v[4:5], s[26:27], -v[64:65]
	v_add_f64 v[30:31], v[24:25], v[30:31]
	v_fma_f64 v[24:25], s[38:39], v[28:29], v[100:101]
	v_mul_f64 v[222:223], v[40:41], s[36:37]
	v_mul_f64 v[206:207], v[58:59], v[230:231]
	v_add_f64 v[0:1], v[188:189], v[0:1]
	v_add_f64 v[32:33], v[24:25], v[32:33]
	v_mul_f64 v[230:231], v[38:39], s[0:1]
	v_fma_f64 v[24:25], v[26:27], s[0:1], -v[222:223]
	v_add_f64 v[0:1], v[24:25], v[0:1]
	v_fma_f64 v[24:25], s[36:37], v[28:29], v[230:231]
	v_add_f64 v[40:41], v[46:47], -v[50:51]
	v_add_f64 v[36:37], v[24:25], v[36:37]
	v_mul_f64 v[24:25], v[40:41], s[28:29]
	v_accvgpr_write_b32 a81, v49
	v_add_f64 v[242:243], v[196:197], v[84:85]
	v_add_f64 v[38:39], v[46:47], v[50:51]
	v_accvgpr_write_b32 a125, v25
	v_accvgpr_write_b32 a80, v48
	v_add_f64 v[74:75], v[196:197], -v[84:85]
	v_accvgpr_write_b32 a83, v47
	v_mul_f64 v[48:49], v[38:39], s[18:19]
	v_accvgpr_write_b32 a124, v24
	v_fma_f64 v[24:25], v[242:243], s[18:19], -v[24:25]
	v_accvgpr_write_b32 a82, v46
	v_add_f64 v[46:47], v[24:25], v[8:9]
	v_accvgpr_write_b32 a129, v49
	v_fma_f64 v[8:9], s[28:29], v[74:75], v[48:49]
	v_accvgpr_write_b32 a128, v48
	v_add_f64 v[48:49], v[8:9], v[10:11]
	v_mul_f64 v[8:9], v[40:41], s[24:25]
	v_mul_f64 v[10:11], v[38:39], s[26:27]
	v_accvgpr_write_b32 a135, v9
	v_accvgpr_write_b32 a97, v51
	;; [unrolled: 1-line block ×3, first 2 shown]
	v_fma_f64 v[8:9], v[242:243], s[26:27], -v[8:9]
	v_accvgpr_write_b32 a137, v11
	s_mov_b32 s47, 0x3fedeba7
	s_mov_b32 s46, s30
	v_accvgpr_write_b32 a96, v50
	v_add_f64 v[50:51], v[8:9], v[14:15]
	v_accvgpr_write_b32 a136, v10
	v_fma_f64 v[8:9], s[24:25], v[74:75], v[10:11]
	v_mul_f64 v[10:11], v[40:41], s[46:47]
	v_add_f64 v[52:53], v[8:9], v[16:17]
	v_mul_f64 v[16:17], v[38:39], s[34:35]
	v_fma_f64 v[8:9], v[242:243], s[34:35], -v[10:11]
	v_add_f64 v[42:43], v[8:9], v[42:43]
	v_fma_f64 v[8:9], s[46:47], v[74:75], v[16:17]
	v_mul_f64 v[24:25], v[40:41], s[36:37]
	v_add_f64 v[54:55], v[8:9], v[20:21]
	v_mul_f64 v[88:89], v[38:39], s[0:1]
	v_fma_f64 v[8:9], v[242:243], s[0:1], -v[24:25]
	v_add_f64 v[22:23], v[8:9], v[22:23]
	v_fma_f64 v[8:9], s[36:37], v[74:75], v[88:89]
	v_mul_f64 v[178:179], v[40:41], s[16:17]
	v_fmac_f64_e32 v[206:207], v[56:57], v[228:229]
	v_add_f64 v[44:45], v[8:9], v[44:45]
	v_mul_f64 v[228:229], v[38:39], s[14:15]
	v_fma_f64 v[8:9], v[242:243], s[14:15], -v[178:179]
	v_add_f64 v[56:57], v[8:9], v[30:31]
	v_fma_f64 v[8:9], s[16:17], v[74:75], v[228:229]
	v_mul_f64 v[202:203], v[40:41], s[22:23]
	v_add_f64 v[32:33], v[8:9], v[32:33]
	v_mul_f64 v[212:213], v[38:39], s[20:21]
	v_fma_f64 v[8:9], v[242:243], s[20:21], -v[202:203]
	v_accvgpr_write_b32 a95, v61
	v_add_f64 v[38:39], v[8:9], v[0:1]
	v_fma_f64 v[0:1], s[22:23], v[74:75], v[212:213]
	v_add_f64 v[58:59], v[90:91], v[60:61]
	v_accvgpr_write_b32 a94, v60
	v_add_f64 v[60:61], v[90:91], -v[60:61]
	v_add_f64 v[40:41], v[0:1], v[36:37]
	v_add_f64 v[92:93], v[198:199], v[208:209]
	v_mul_f64 v[0:1], v[60:61], s[30:31]
	v_add_f64 v[96:97], v[198:199], -v[208:209]
	v_mul_f64 v[8:9], v[58:59], s[34:35]
	v_fma_f64 v[14:15], v[92:93], s[34:35], -v[0:1]
	v_add_f64 v[46:47], v[14:15], v[46:47]
	v_fma_f64 v[14:15], s[30:31], v[96:97], v[8:9]
	v_add_f64 v[48:49], v[14:15], v[48:49]
	v_mul_f64 v[14:15], v[60:61], s[42:43]
	v_mul_f64 v[20:21], v[58:59], s[20:21]
	v_fma_f64 v[30:31], v[92:93], s[20:21], -v[14:15]
	v_add_f64 v[50:51], v[30:31], v[50:51]
	v_fma_f64 v[30:31], s[42:43], v[96:97], v[20:21]
	v_add_f64 v[52:53], v[30:31], v[52:53]
	v_mul_f64 v[30:31], v[60:61], s[36:37]
	v_mul_f64 v[36:37], v[58:59], s[0:1]
	v_fma_f64 v[62:63], v[92:93], s[0:1], -v[30:31]
	v_add_f64 v[42:43], v[62:63], v[42:43]
	v_fma_f64 v[62:63], s[36:37], v[96:97], v[36:37]
	v_mul_f64 v[94:95], v[60:61], s[28:29]
	v_add_f64 v[54:55], v[62:63], v[54:55]
	v_mul_f64 v[124:125], v[58:59], s[18:19]
	v_fma_f64 v[62:63], v[92:93], s[18:19], -v[94:95]
	s_mov_b32 s49, 0x3fcea1e5
	s_mov_b32 s48, s24
	v_add_f64 v[62:63], v[62:63], v[22:23]
	v_fma_f64 v[22:23], s[28:29], v[96:97], v[124:125]
	v_mul_f64 v[232:233], v[60:61], s[48:49]
	v_add_f64 v[44:45], v[22:23], v[44:45]
	v_mul_f64 v[234:235], v[58:59], s[26:27]
	v_fma_f64 v[22:23], v[92:93], s[26:27], -v[232:233]
	s_mov_b32 s51, 0x3fea55e2
	s_mov_b32 s50, s16
	v_add_f64 v[56:57], v[22:23], v[56:57]
	v_fma_f64 v[22:23], s[48:49], v[96:97], v[234:235]
	v_mul_f64 v[214:215], v[60:61], s[50:51]
	v_add_f64 v[78:79], v[22:23], v[32:33]
	v_mul_f64 v[218:219], v[58:59], s[14:15]
	v_fma_f64 v[22:23], v[92:93], s[14:15], -v[214:215]
	v_add_f64 v[58:59], v[22:23], v[38:39]
	v_fma_f64 v[22:23], s[50:51], v[96:97], v[218:219]
	v_add_f64 v[82:83], v[98:99], -v[104:105]
	v_add_f64 v[40:41], v[22:23], v[40:41]
	v_add_f64 v[106:107], v[200:201], v[206:207]
	;; [unrolled: 1-line block ×3, first 2 shown]
	v_mul_f64 v[22:23], v[82:83], s[22:23]
	v_add_f64 v[184:185], v[200:201], -v[206:207]
	v_mul_f64 v[32:33], v[60:61], s[20:21]
	v_fma_f64 v[38:39], v[106:107], s[20:21], -v[22:23]
	v_add_f64 v[46:47], v[38:39], v[46:47]
	v_fma_f64 v[38:39], s[22:23], v[184:185], v[32:33]
	v_add_f64 v[48:49], v[38:39], v[48:49]
	v_mul_f64 v[38:39], v[82:83], s[38:39]
	v_accvgpr_write_b32 a86, v98
	v_mul_f64 v[182:183], v[60:61], s[18:19]
	v_fma_f64 v[86:87], v[106:107], s[18:19], -v[38:39]
	v_accvgpr_write_b32 a87, v99
	v_accvgpr_write_b32 a92, v104
	v_add_f64 v[50:51], v[86:87], v[50:51]
	v_fma_f64 v[86:87], s[38:39], v[184:185], v[182:183]
	v_mul_f64 v[98:99], v[82:83], s[16:17]
	v_accvgpr_write_b32 a93, v105
	v_add_f64 v[52:53], v[86:87], v[52:53]
	v_mul_f64 v[104:105], v[60:61], s[14:15]
	v_fma_f64 v[86:87], v[106:107], s[14:15], -v[98:99]
	v_add_f64 v[42:43], v[86:87], v[42:43]
	v_fma_f64 v[86:87], s[16:17], v[184:185], v[104:105]
	v_mul_f64 v[186:187], v[82:83], s[48:49]
	v_add_f64 v[54:55], v[86:87], v[54:55]
	v_mul_f64 v[244:245], v[60:61], s[26:27]
	v_fma_f64 v[86:87], v[106:107], s[26:27], -v[186:187]
	v_add_f64 v[238:239], v[86:87], v[62:63]
	v_fma_f64 v[62:63], s[48:49], v[184:185], v[244:245]
	v_mul_f64 v[246:247], v[82:83], s[36:37]
	;; [unrolled: 6-line block ×3, first 2 shown]
	v_add_f64 v[78:79], v[44:45], v[78:79]
	v_mul_f64 v[86:87], v[60:61], s[34:35]
	v_fma_f64 v[44:45], v[106:107], s[34:35], -v[248:249]
	v_add_f64 v[72:73], v[44:45], v[58:59]
	v_fma_f64 v[44:45], s[30:31], v[184:185], v[86:87]
	v_add_f64 v[82:83], v[102:103], -v[126:127]
	v_accvgpr_write_b32 a84, v90
	v_add_f64 v[254:255], v[44:45], v[40:41]
	v_add_f64 v[220:221], v[68:69], v[70:71]
	;; [unrolled: 1-line block ×3, first 2 shown]
	v_mul_f64 v[180:181], v[82:83], s[24:25]
	v_accvgpr_write_b32 a85, v91
	v_add_f64 v[224:225], v[68:69], -v[70:71]
	v_accvgpr_write_b32 a88, v102
	v_mul_f64 v[90:91], v[40:41], s[26:27]
	v_fma_f64 v[44:45], v[220:221], s[26:27], -v[180:181]
	v_accvgpr_write_b32 a89, v103
	v_add_f64 v[60:61], v[44:45], v[46:47]
	v_fma_f64 v[44:45], s[24:25], v[224:225], v[90:91]
	v_mul_f64 v[102:103], v[82:83], s[36:37]
	v_accvgpr_write_b32 a90, v126
	v_add_f64 v[62:63], v[44:45], v[48:49]
	v_mul_f64 v[176:177], v[40:41], s[0:1]
	v_fma_f64 v[44:45], v[220:221], s[0:1], -v[102:103]
	v_accvgpr_write_b32 a91, v127
	v_add_f64 v[56:57], v[44:45], v[50:51]
	v_fma_f64 v[44:45], s[36:37], v[224:225], v[176:177]
	v_mul_f64 v[126:127], v[82:83], s[22:23]
	v_add_f64 v[58:59], v[44:45], v[52:53]
	v_mul_f64 v[226:227], v[40:41], s[20:21]
	v_fma_f64 v[44:45], v[220:221], s[20:21], -v[126:127]
	v_add_f64 v[52:53], v[44:45], v[42:43]
	v_fma_f64 v[42:43], s[22:23], v[224:225], v[226:227]
	v_mul_f64 v[204:205], v[82:83], s[50:51]
	v_add_f64 v[54:55], v[42:43], v[54:55]
	v_mul_f64 v[210:211], v[40:41], s[14:15]
	v_fma_f64 v[42:43], v[220:221], s[14:15], -v[204:205]
	;; [unrolled: 6-line block ×3, first 2 shown]
	v_add_f64 v[48:49], v[42:43], v[252:253]
	v_fma_f64 v[42:43], s[30:31], v[224:225], v[250:251]
	v_add_f64 v[50:51], v[42:43], v[78:79]
	v_mul_f64 v[82:83], v[82:83], s[38:39]
	v_mul_f64 v[78:79], v[40:41], s[18:19]
	v_fma_f64 v[40:41], v[220:221], s[18:19], -v[82:83]
	v_fma_f64 v[42:43], s[38:39], v[224:225], v[78:79]
	v_add_f64 v[40:41], v[40:41], v[72:73]
	v_add_f64 v[42:43], v[42:43], v[254:255]
	s_barrier
	s_and_saveexec_b64 s[40:41], s[2:3]
	s_cbranch_execz .LBB0_25
; %bb.24:
	v_mul_f64 v[72:73], v[224:225], s[38:39]
	v_add_f64 v[72:73], v[78:79], -v[72:73]
	v_mul_f64 v[78:79], v[184:185], s[30:31]
	v_add_f64 v[78:79], v[86:87], -v[78:79]
	;; [unrolled: 2-line block ×6, first 2 shown]
	v_add_f64 v[66:67], v[190:191], v[66:67]
	v_add_f64 v[66:67], v[218:219], v[66:67]
	v_mul_f64 v[218:219], v[92:93], s[14:15]
	v_add_f64 v[214:215], v[218:219], v[214:215]
	v_mul_f64 v[218:219], v[242:243], s[20:21]
	v_add_f64 v[202:203], v[218:219], v[202:203]
	v_mul_f64 v[218:219], v[26:27], s[0:1]
	v_add_f64 v[218:219], v[218:219], v[222:223]
	v_mul_f64 v[222:223], v[4:5], s[26:27]
	v_add_f64 v[64:65], v[222:223], v[64:65]
	v_add_f64 v[66:67], v[212:213], v[66:67]
	;; [unrolled: 1-line block ×5, first 2 shown]
	v_mul_f64 v[230:231], v[184:185], s[36:37]
	v_add_f64 v[66:67], v[78:79], v[66:67]
	v_add_f64 v[64:65], v[202:203], v[64:65]
	v_add_f64 v[216:217], v[216:217], -v[230:231]
	v_mul_f64 v[230:231], v[96:97], s[48:49]
	v_mul_f64 v[86:87], v[6:7], s[44:45]
	;; [unrolled: 1-line block ×3, first 2 shown]
	v_add_f64 v[64:65], v[214:215], v[64:65]
	v_mul_f64 v[214:215], v[6:7], s[28:29]
	v_add_f64 v[66:67], v[72:73], v[66:67]
	v_mul_f64 v[72:73], v[6:7], s[30:31]
	v_mul_f64 v[6:7], v[6:7], s[22:23]
	v_add_f64 v[230:231], v[234:235], -v[230:231]
	v_mul_f64 v[234:235], v[74:75], s[16:17]
	v_add_f64 v[228:229], v[228:229], -v[234:235]
	;; [unrolled: 2-line block ×3, first 2 shown]
	v_add_f64 v[100:101], v[100:101], -v[234:235]
	v_add_f64 v[6:7], v[190:191], v[6:7]
	v_add_f64 v[6:7], v[100:101], v[6:7]
	;; [unrolled: 1-line block ×4, first 2 shown]
	v_mul_f64 v[78:79], v[220:221], s[18:19]
	v_add_f64 v[6:7], v[216:217], v[6:7]
	v_mul_f64 v[216:217], v[220:221], s[34:35]
	v_add_f64 v[78:79], v[78:79], v[82:83]
	;; [unrolled: 2-line block ×4, first 2 shown]
	v_add_f64 v[238:239], v[238:239], v[246:247]
	v_mul_f64 v[246:247], v[92:93], s[26:27]
	v_mul_f64 v[212:213], v[4:5], s[0:1]
	;; [unrolled: 1-line block ×4, first 2 shown]
	v_add_f64 v[64:65], v[82:83], v[64:65]
	v_mul_f64 v[82:83], v[4:5], s[34:35]
	v_mul_f64 v[4:5], v[4:5], s[20:21]
	v_add_f64 v[232:233], v[246:247], v[232:233]
	v_mul_f64 v[246:247], v[242:243], s[14:15]
	v_add_f64 v[178:179], v[246:247], v[178:179]
	;; [unrolled: 2-line block ×3, first 2 shown]
	v_add_f64 v[240:241], v[246:247], v[240:241]
	v_add_f64 v[4:5], v[188:189], v[4:5]
	;; [unrolled: 1-line block ×7, first 2 shown]
	v_mul_f64 v[216:217], v[224:225], s[50:51]
	v_mul_f64 v[234:235], v[26:27], s[14:15]
	;; [unrolled: 1-line block ×5, first 2 shown]
	v_add_f64 v[210:211], v[210:211], -v[216:217]
	v_mul_f64 v[216:217], v[184:185], s[48:49]
	v_add_f64 v[216:217], v[244:245], -v[216:217]
	v_accvgpr_read_b32 v245, a131
	v_add_f64 v[2:3], v[26:27], v[2:3]
	v_accvgpr_read_b32 v26, a120
	v_add_f64 v[64:65], v[78:79], v[64:65]
	v_mul_f64 v[78:79], v[224:225], s[30:31]
	v_accvgpr_read_b32 v244, a130
	v_accvgpr_read_b32 v27, a121
	v_add_f64 v[78:79], v[250:251], -v[78:79]
	v_mul_f64 v[34:35], v[28:29], s[16:17]
	v_mul_f64 v[228:229], v[28:29], s[30:31]
	v_mul_f64 v[246:247], v[28:29], s[24:25]
	v_mul_f64 v[28:29], v[28:29], s[42:43]
	v_add_f64 v[72:73], v[244:245], -v[72:73]
	v_add_f64 v[26:27], v[82:83], v[26:27]
	v_mul_f64 v[248:249], v[242:243], s[18:19]
	v_mul_f64 v[178:179], v[242:243], s[26:27]
	;; [unrolled: 1-line block ×3, first 2 shown]
	v_add_f64 v[6:7], v[78:79], v[6:7]
	v_mul_f64 v[78:79], v[242:243], s[0:1]
	v_mul_f64 v[242:243], v[96:97], s[28:29]
	v_add_f64 v[18:19], v[18:19], -v[28:29]
	v_add_f64 v[72:73], v[190:191], v[72:73]
	v_add_f64 v[26:27], v[188:189], v[26:27]
	v_add_f64 v[124:125], v[124:125], -v[242:243]
	v_mul_f64 v[242:243], v[92:93], s[34:35]
	v_mul_f64 v[28:29], v[92:93], s[20:21]
	v_add_f64 v[18:19], v[18:19], v[72:73]
	v_mul_f64 v[72:73], v[92:93], s[0:1]
	v_mul_f64 v[92:93], v[92:93], s[18:19]
	v_add_f64 v[24:25], v[78:79], v[24:25]
	v_add_f64 v[2:3], v[2:3], v[26:27]
	;; [unrolled: 1-line block ×4, first 2 shown]
	v_mul_f64 v[12:13], v[74:75], s[46:47]
	v_add_f64 v[2:3], v[92:93], v[2:3]
	v_accvgpr_read_b32 v92, a114
	v_mul_f64 v[240:241], v[74:75], s[28:29]
	v_mul_f64 v[232:233], v[74:75], s[24:25]
	v_mul_f64 v[74:75], v[74:75], s[36:37]
	v_add_f64 v[12:13], v[16:17], -v[12:13]
	v_accvgpr_read_b32 v16, a132
	v_accvgpr_read_b32 v93, a115
	v_add_f64 v[74:75], v[88:89], -v[74:75]
	v_accvgpr_read_b32 v17, a133
	v_add_f64 v[92:93], v[92:93], -v[214:215]
	v_add_f64 v[18:19], v[74:75], v[18:19]
	v_add_f64 v[16:17], v[16:17], -v[246:247]
	v_add_f64 v[92:93], v[190:191], v[92:93]
	v_mul_f64 v[88:89], v[96:97], s[30:31]
	v_mul_f64 v[244:245], v[96:97], s[42:43]
	;; [unrolled: 1-line block ×3, first 2 shown]
	v_add_f64 v[18:19], v[124:125], v[18:19]
	v_add_f64 v[16:17], v[16:17], v[92:93]
	v_mul_f64 v[124:125], v[184:185], s[22:23]
	v_add_f64 v[18:19], v[216:217], v[18:19]
	v_mul_f64 v[94:95], v[184:185], s[38:39]
	v_mul_f64 v[184:185], v[184:185], s[16:17]
	v_add_f64 v[36:37], v[36:37], -v[96:97]
	v_add_f64 v[12:13], v[12:13], v[16:17]
	v_add_f64 v[26:27], v[210:211], v[18:19]
	v_add_f64 v[18:19], v[104:105], -v[184:185]
	v_add_f64 v[12:13], v[36:37], v[12:13]
	v_accvgpr_read_b32 v36, a110
	v_add_f64 v[12:13], v[18:19], v[12:13]
	v_add_f64 v[18:19], v[72:73], v[30:31]
	v_accvgpr_read_b32 v30, a126
	v_accvgpr_read_b32 v37, a111
	v_accvgpr_read_b32 v31, a127
	v_add_f64 v[36:37], v[202:203], v[36:37]
	v_add_f64 v[30:31], v[230:231], v[30:31]
	;; [unrolled: 1-line block ×5, first 2 shown]
	v_accvgpr_read_b32 v36, a108
	v_add_f64 v[10:11], v[10:11], v[30:31]
	v_accvgpr_read_b32 v30, a122
	v_accvgpr_read_b32 v37, a109
	v_add_f64 v[10:11], v[18:19], v[10:11]
	v_add_f64 v[18:19], v[20:21], -v[244:245]
	v_accvgpr_read_b32 v20, a136
	v_accvgpr_read_b32 v31, a123
	v_add_f64 v[36:37], v[36:37], -v[218:219]
	v_accvgpr_read_b32 v21, a137
	v_add_f64 v[30:31], v[30:31], -v[228:229]
	v_add_f64 v[36:37], v[190:191], v[36:37]
	v_add_f64 v[20:21], v[20:21], -v[232:233]
	v_add_f64 v[30:31], v[30:31], v[36:37]
	v_add_f64 v[20:21], v[20:21], v[30:31]
	v_accvgpr_read_b32 v30, a106
	v_add_f64 v[14:15], v[28:29], v[14:15]
	v_accvgpr_read_b32 v28, a118
	v_accvgpr_read_b32 v31, a107
	v_add_f64 v[18:19], v[18:19], v[20:21]
	v_accvgpr_read_b32 v20, a134
	;; [unrolled: 3-line block ×3, first 2 shown]
	v_add_f64 v[28:29], v[100:101], v[28:29]
	v_add_f64 v[30:31], v[188:189], v[30:31]
	v_mul_f64 v[216:217], v[220:221], s[14:15]
	v_add_f64 v[20:21], v[178:179], v[20:21]
	v_add_f64 v[28:29], v[28:29], v[30:31]
	v_accvgpr_read_b32 v30, a104
	v_add_f64 v[204:205], v[216:217], v[204:205]
	v_mul_f64 v[216:217], v[106:107], s[26:27]
	v_add_f64 v[20:21], v[20:21], v[28:29]
	v_accvgpr_read_b32 v28, a116
	v_accvgpr_read_b32 v31, a105
	v_mul_f64 v[74:75], v[106:107], s[20:21]
	v_add_f64 v[186:187], v[216:217], v[186:187]
	v_mul_f64 v[216:217], v[106:107], s[18:19]
	v_mul_f64 v[106:107], v[106:107], s[14:15]
	v_add_f64 v[14:15], v[14:15], v[20:21]
	v_accvgpr_read_b32 v20, a128
	v_accvgpr_read_b32 v29, a117
	v_add_f64 v[30:31], v[30:31], -v[86:87]
	v_add_f64 v[16:17], v[106:107], v[98:99]
	v_accvgpr_read_b32 v21, a129
	v_add_f64 v[28:29], v[28:29], -v[34:35]
	v_add_f64 v[30:31], v[190:191], v[30:31]
	v_add_f64 v[10:11], v[16:17], v[10:11]
	v_add_f64 v[16:17], v[182:183], -v[94:95]
	v_add_f64 v[20:21], v[20:21], -v[240:241]
	v_add_f64 v[28:29], v[28:29], v[30:31]
	v_add_f64 v[16:17], v[16:17], v[18:19]
	;; [unrolled: 1-line block ×3, first 2 shown]
	v_add_f64 v[8:9], v[8:9], -v[88:89]
	v_add_f64 v[20:21], v[20:21], v[28:29]
	v_add_f64 v[14:15], v[18:19], v[14:15]
	v_add_f64 v[18:19], v[32:33], -v[124:125]
	v_add_f64 v[8:9], v[8:9], v[20:21]
	v_accvgpr_read_b32 v28, a102
	v_mul_f64 v[250:251], v[224:225], s[24:25]
	v_mul_f64 v[252:253], v[224:225], s[36:37]
	;; [unrolled: 1-line block ×3, first 2 shown]
	v_add_f64 v[2:3], v[186:187], v[2:3]
	v_add_f64 v[8:9], v[18:19], v[8:9]
	;; [unrolled: 1-line block ×3, first 2 shown]
	v_accvgpr_read_b32 v22, a112
	v_accvgpr_read_b32 v29, a103
	v_mul_f64 v[78:79], v[220:221], s[26:27]
	v_mul_f64 v[82:83], v[220:221], s[0:1]
	;; [unrolled: 1-line block ×3, first 2 shown]
	v_add_f64 v[24:25], v[204:205], v[2:3]
	v_add_f64 v[2:3], v[226:227], -v[224:225]
	v_accvgpr_read_b32 v20, a124
	v_accvgpr_read_b32 v23, a113
	v_add_f64 v[28:29], v[212:213], v[28:29]
	v_add_f64 v[12:13], v[2:3], v[12:13]
	;; [unrolled: 1-line block ×3, first 2 shown]
	v_accvgpr_read_b32 v21, a125
	v_add_f64 v[22:23], v[234:235], v[22:23]
	v_add_f64 v[28:29], v[188:189], v[28:29]
	;; [unrolled: 1-line block ×3, first 2 shown]
	v_add_f64 v[2:3], v[176:177], -v[252:253]
	v_add_f64 v[20:21], v[248:249], v[20:21]
	v_add_f64 v[22:23], v[22:23], v[28:29]
	;; [unrolled: 1-line block ×7, first 2 shown]
	v_add_f64 v[2:3], v[90:91], -v[250:251]
	v_add_f64 v[0:1], v[0:1], v[20:21]
	v_add_f64 v[2:3], v[2:3], v[8:9]
	;; [unrolled: 1-line block ×5, first 2 shown]
	v_accvgpr_read_b32 v8, a48
	v_accvgpr_read_b32 v9, a49
	;; [unrolled: 1-line block ×3, first 2 shown]
	v_add_f64 v[8:9], v[190:191], v[8:9]
	v_accvgpr_read_b32 v19, a81
	v_add_f64 v[8:9], v[8:9], v[18:19]
	v_accvgpr_read_b32 v18, a82
	v_accvgpr_read_b32 v19, a83
	v_add_f64 v[8:9], v[8:9], v[18:19]
	v_accvgpr_read_b32 v18, a84
	v_accvgpr_read_b32 v19, a85
	v_add_f64 v[8:9], v[8:9], v[18:19]
	v_accvgpr_read_b32 v18, a86
	v_accvgpr_read_b32 v19, a87
	v_add_f64 v[8:9], v[8:9], v[18:19]
	v_accvgpr_read_b32 v18, a88
	v_accvgpr_read_b32 v19, a89
	v_add_f64 v[8:9], v[8:9], v[18:19]
	v_accvgpr_read_b32 v18, a90
	v_accvgpr_read_b32 v19, a91
	v_add_f64 v[8:9], v[8:9], v[18:19]
	v_accvgpr_read_b32 v18, a92
	v_accvgpr_read_b32 v19, a93
	v_add_f64 v[8:9], v[8:9], v[18:19]
	v_accvgpr_read_b32 v18, a94
	v_accvgpr_read_b32 v19, a95
	v_add_f64 v[8:9], v[8:9], v[18:19]
	v_accvgpr_read_b32 v18, a96
	v_accvgpr_read_b32 v19, a97
	v_add_f64 v[8:9], v[8:9], v[18:19]
	v_accvgpr_read_b32 v18, a98
	v_accvgpr_read_b32 v19, a99
	v_add_f64 v[8:9], v[8:9], v[18:19]
	v_accvgpr_read_b32 v18, a100
	v_accvgpr_read_b32 v19, a101
	v_add_f64 v[20:21], v[8:9], v[18:19]
	v_add_f64 v[8:9], v[188:189], v[192:193]
	;; [unrolled: 1-line block ×13, first 2 shown]
	v_accvgpr_read_b32 v8, a46
	v_mul_u32_u24_e32 v8, 26, v8
	v_accvgpr_read_b32 v9, a11
	v_or_b32_e32 v8, v8, v9
	v_lshlrev_b32_e32 v8, 4, v8
	ds_write_b128 v8, v[18:21]
	ds_write_b128 v8, v[0:3] offset:32
	ds_write_b128 v8, v[14:17] offset:64
	;; [unrolled: 1-line block ×12, first 2 shown]
.LBB0_25:
	s_or_b64 exec, exec, s[40:41]
	s_waitcnt lgkmcnt(0)
	s_barrier
	ds_read_b128 v[64:67], v236
	ds_read_b128 v[180:183], v236 offset:4576
	ds_read_b128 v[84:87], v236 offset:9152
	;; [unrolled: 1-line block ×6, first 2 shown]
	s_and_saveexec_b64 s[0:1], s[4:5]
	s_cbranch_execz .LBB0_27
; %bb.26:
	ds_read_b128 v[40:43], v236 offset:2912
	ds_read_b128 v[48:51], v236 offset:7488
	;; [unrolled: 1-line block ×7, first 2 shown]
.LBB0_27:
	s_or_b64 exec, exec, s[0:1]
	s_waitcnt lgkmcnt(5)
	v_mul_f64 v[0:1], v[122:123], v[182:183]
	s_waitcnt lgkmcnt(4)
	v_mul_f64 v[4:5], v[118:119], v[86:87]
	;; [unrolled: 2-line block ×4, first 2 shown]
	v_fmac_f64_e32 v[0:1], v[120:121], v[180:181]
	v_mul_f64 v[2:3], v[122:123], v[180:181]
	v_fmac_f64_e32 v[4:5], v[116:117], v[84:85]
	v_mul_f64 v[6:7], v[118:119], v[84:85]
	v_mul_f64 v[8:9], v[114:115], v[82:83]
	;; [unrolled: 1-line block ×3, first 2 shown]
	v_fmac_f64_e32 v[16:17], v[132:133], v[72:73]
	v_mul_f64 v[18:19], v[134:135], v[72:73]
	v_fmac_f64_e32 v[20:21], v[128:129], v[68:69]
	v_mul_f64 v[22:23], v[130:131], v[68:69]
	v_fma_f64 v[2:3], v[120:121], v[182:183], -v[2:3]
	v_fma_f64 v[6:7], v[116:117], v[86:87], -v[6:7]
	v_fmac_f64_e32 v[8:9], v[112:113], v[80:81]
	v_mul_f64 v[10:11], v[114:115], v[80:81]
	v_fmac_f64_e32 v[12:13], v[108:109], v[76:77]
	v_mul_f64 v[14:15], v[110:111], v[76:77]
	v_fma_f64 v[18:19], v[132:133], v[74:75], -v[18:19]
	v_fma_f64 v[22:23], v[128:129], v[70:71], -v[22:23]
	v_add_f64 v[24:25], v[0:1], v[20:21]
	v_add_f64 v[0:1], v[0:1], -v[20:21]
	v_add_f64 v[20:21], v[4:5], v[16:17]
	v_fma_f64 v[10:11], v[112:113], v[82:83], -v[10:11]
	v_fma_f64 v[14:15], v[108:109], v[78:79], -v[14:15]
	v_add_f64 v[26:27], v[2:3], v[22:23]
	v_add_f64 v[2:3], v[2:3], -v[22:23]
	v_add_f64 v[22:23], v[6:7], v[18:19]
	v_add_f64 v[4:5], v[4:5], -v[16:17]
	;; [unrolled: 2-line block ×5, first 2 shown]
	v_add_f64 v[14:15], v[22:23], v[26:27]
	v_add_f64 v[32:33], v[8:9], v[4:5]
	;; [unrolled: 1-line block ×3, first 2 shown]
	v_add_f64 v[28:29], v[20:21], -v[24:25]
	v_add_f64 v[24:25], v[24:25], -v[16:17]
	;; [unrolled: 1-line block ×3, first 2 shown]
	v_add_f64 v[34:35], v[10:11], v[6:7]
	v_add_f64 v[36:37], v[8:9], -v[4:5]
	v_add_f64 v[8:9], v[0:1], -v[8:9]
	;; [unrolled: 1-line block ×3, first 2 shown]
	v_add_f64 v[14:15], v[18:19], v[14:15]
	v_add_f64 v[16:17], v[32:33], v[0:1]
	;; [unrolled: 1-line block ×3, first 2 shown]
	s_mov_b32 s14, 0x37e14327
	s_mov_b32 s16, 0x36b3c0b5
	;; [unrolled: 1-line block ×5, first 2 shown]
	v_add_f64 v[30:31], v[22:23], -v[26:27]
	v_add_f64 v[26:27], v[26:27], -v[18:19]
	;; [unrolled: 1-line block ×6, first 2 shown]
	v_add_f64 v[18:19], v[34:35], v[2:3]
	v_add_f64 v[2:3], v[66:67], v[14:15]
	s_mov_b32 s15, 0x3fe948f6
	s_mov_b32 s17, 0x3fac98ee
	;; [unrolled: 1-line block ×5, first 2 shown]
	v_mov_b64_e32 v[68:69], v[0:1]
	s_mov_b32 s2, 0x5476071b
	s_mov_b32 s28, 0xb247c609
	v_mul_f64 v[24:25], v[24:25], s[14:15]
	v_mul_f64 v[26:27], v[26:27], s[14:15]
	;; [unrolled: 1-line block ×8, first 2 shown]
	v_fmac_f64_e32 v[68:69], s[26:27], v[12:13]
	v_mov_b64_e32 v[12:13], v[2:3]
	s_mov_b32 s3, 0x3fe77f67
	s_mov_b32 s21, 0xbfe77f67
	s_mov_b32 s20, s2
	s_mov_b32 s29, 0xbfd5d0dc
	s_mov_b32 s25, 0x3fd5d0dc
	s_mov_b32 s24, s28
	s_mov_b32 s22, 0x37c3f68c
	v_fmac_f64_e32 v[12:13], s[26:27], v[14:15]
	v_fma_f64 v[14:15], v[28:29], s[2:3], -v[32:33]
	v_fma_f64 v[32:33], v[30:31], s[2:3], -v[34:35]
	v_fma_f64 v[28:29], v[28:29], s[20:21], -v[24:25]
	v_fmac_f64_e32 v[24:25], s[16:17], v[20:21]
	v_fma_f64 v[20:21], v[30:31], s[20:21], -v[26:27]
	v_fmac_f64_e32 v[26:27], s[16:17], v[22:23]
	v_fma_f64 v[22:23], v[4:5], s[0:1], -v[36:37]
	;; [unrolled: 2-line block ×4, first 2 shown]
	v_fma_f64 v[64:65], v[10:11], s[24:25], -v[66:67]
	s_mov_b32 s23, 0xbfdc38aa
	v_add_f64 v[24:25], v[24:25], v[68:69]
	v_add_f64 v[26:27], v[26:27], v[12:13]
	;; [unrolled: 1-line block ×6, first 2 shown]
	v_fmac_f64_e32 v[36:37], s[22:23], v[16:17]
	v_fmac_f64_e32 v[38:39], s[22:23], v[18:19]
	;; [unrolled: 1-line block ×6, first 2 shown]
	v_add_f64 v[4:5], v[38:39], v[24:25]
	v_add_f64 v[6:7], v[26:27], -v[36:37]
	v_add_f64 v[8:9], v[64:65], v[28:29]
	v_add_f64 v[10:11], v[68:69], -v[34:35]
	v_add_f64 v[12:13], v[66:67], -v[30:31]
	v_add_f64 v[14:15], v[22:23], v[32:33]
	v_add_f64 v[16:17], v[30:31], v[66:67]
	v_add_f64 v[18:19], v[32:33], -v[22:23]
	v_add_f64 v[20:21], v[28:29], -v[64:65]
	v_add_f64 v[22:23], v[34:35], v[68:69]
	v_add_f64 v[24:25], v[24:25], -v[38:39]
	v_add_f64 v[26:27], v[36:37], v[26:27]
	s_barrier
	ds_write_b128 v237, v[0:3]
	ds_write_b128 v237, v[4:7] offset:416
	ds_write_b128 v237, v[8:11] offset:832
	;; [unrolled: 1-line block ×6, first 2 shown]
	s_and_saveexec_b64 s[30:31], s[4:5]
	s_cbranch_execz .LBB0_29
; %bb.28:
	v_accvgpr_read_b32 v30, a64
	v_accvgpr_read_b32 v75, a71
	v_accvgpr_read_b32 v83, a79
	v_accvgpr_read_b32 v67, a55
	v_accvgpr_read_b32 v71, a59
	v_accvgpr_read_b32 v36, a60
	v_accvgpr_read_b32 v79, a75
	v_accvgpr_read_b32 v32, a66
	v_accvgpr_read_b32 v33, a67
	v_accvgpr_read_b32 v74, a70
	v_accvgpr_read_b32 v82, a78
	v_accvgpr_read_b32 v66, a54
	v_accvgpr_read_b32 v70, a58
	v_accvgpr_read_b32 v38, a62
	v_accvgpr_read_b32 v39, a63
	v_accvgpr_read_b32 v78, a74
	v_accvgpr_read_b32 v31, a65
	v_mul_f64 v[0:1], v[32:33], v[50:51]
	v_accvgpr_read_b32 v73, a69
	v_accvgpr_read_b32 v72, a68
	;; [unrolled: 1-line block ×4, first 2 shown]
	v_mul_f64 v[4:5], v[74:75], v[82:83]
	v_accvgpr_read_b32 v65, a53
	v_accvgpr_read_b32 v64, a52
	v_mul_f64 v[10:11], v[66:67], v[58:59]
	v_accvgpr_read_b32 v69, a57
	v_accvgpr_read_b32 v68, a56
	v_mul_f64 v[12:13], v[70:71], v[54:55]
	v_accvgpr_read_b32 v37, a61
	v_mul_f64 v[16:17], v[38:39], v[46:47]
	v_accvgpr_read_b32 v77, a73
	v_accvgpr_read_b32 v76, a72
	v_mul_f64 v[18:19], v[78:79], v[62:63]
	v_fmac_f64_e32 v[0:1], v[30:31], v[48:49]
	v_fmac_f64_e32 v[4:5], v[72:73], v[80:81]
	v_fmac_f64_e32 v[10:11], v[64:65], v[56:57]
	v_fmac_f64_e32 v[12:13], v[68:69], v[52:53]
	v_fmac_f64_e32 v[16:17], v[36:37], v[44:45]
	v_fmac_f64_e32 v[18:19], v[76:77], v[60:61]
	v_add_f64 v[8:9], v[0:1], -v[4:5]
	v_add_f64 v[2:3], v[10:11], -v[12:13]
	;; [unrolled: 1-line block ×5, first 2 shown]
	v_add_f64 v[2:3], v[2:3], v[20:21]
	v_add_f64 v[26:27], v[2:3], v[8:9]
	v_mul_f64 v[2:3], v[74:75], v[80:81]
	v_fma_f64 v[28:29], v[72:73], v[82:83], -v[2:3]
	v_mul_f64 v[2:3], v[32:33], v[48:49]
	v_fma_f64 v[30:31], v[30:31], v[50:51], -v[2:3]
	v_mul_f64 v[2:3], v[78:79], v[60:61]
	v_mul_f64 v[22:23], v[6:7], s[18:19]
	v_fma_f64 v[34:35], v[76:77], v[62:63], -v[2:3]
	v_mul_f64 v[2:3], v[38:39], v[44:45]
	v_mul_f64 v[6:7], v[70:71], v[52:53]
	v_fma_f64 v[36:37], v[36:37], v[46:47], -v[2:3]
	v_fma_f64 v[44:45], v[68:69], v[54:55], -v[6:7]
	v_mul_f64 v[6:7], v[66:67], v[56:57]
	v_add_f64 v[32:33], v[30:31], v[28:29]
	v_add_f64 v[38:39], v[36:37], v[34:35]
	v_fma_f64 v[46:47], v[64:65], v[58:59], -v[6:7]
	v_add_f64 v[54:55], v[0:1], v[4:5]
	v_add_f64 v[16:17], v[16:17], v[18:19]
	;; [unrolled: 1-line block ×10, first 2 shown]
	v_mov_b64_e32 v[42:43], v[2:3]
	v_mov_b64_e32 v[12:13], v[0:1]
	v_add_f64 v[20:21], v[20:21], -v[8:9]
	v_fmac_f64_e32 v[42:43], s[26:27], v[48:49]
	v_add_f64 v[48:49], v[32:33], -v[6:7]
	v_fmac_f64_e32 v[12:13], s[26:27], v[10:11]
	v_add_f64 v[10:11], v[54:55], -v[4:5]
	v_mul_f64 v[8:9], v[20:21], s[0:1]
	v_fma_f64 v[24:25], s[28:29], v[14:15], v[22:23]
	v_mul_f64 v[48:49], v[48:49], s[14:15]
	v_mul_f64 v[18:19], v[10:11], s[14:15]
	v_add_f64 v[4:5], v[4:5], -v[16:17]
	v_fma_f64 v[58:59], v[14:15], s[24:25], -v[8:9]
	v_add_f64 v[14:15], v[38:39], -v[32:33]
	v_mul_f64 v[40:41], v[4:5], s[16:17]
	v_fma_f64 v[4:5], s[16:17], v[4:5], v[18:19]
	v_add_f64 v[28:29], v[30:31], -v[28:29]
	v_add_f64 v[34:35], v[36:37], -v[34:35]
	v_fma_f64 v[8:9], v[14:15], s[20:21], -v[48:49]
	v_add_f64 v[16:17], v[16:17], -v[54:55]
	v_add_f64 v[6:7], v[6:7], -v[38:39]
	v_add_f64 v[56:57], v[4:5], v[12:13]
	v_add_f64 v[4:5], v[46:47], -v[44:45]
	v_add_f64 v[32:33], v[8:9], v[42:43]
	v_fma_f64 v[8:9], v[16:17], s[20:21], -v[18:19]
	v_add_f64 v[18:19], v[34:35], -v[28:29]
	v_mul_f64 v[50:51], v[6:7], s[16:17]
	v_add_f64 v[30:31], v[28:29], -v[4:5]
	v_add_f64 v[10:11], v[4:5], -v[34:35]
	v_add_f64 v[4:5], v[4:5], v[34:35]
	v_add_f64 v[38:39], v[8:9], v[12:13]
	v_mul_f64 v[8:9], v[18:19], s[0:1]
	v_mul_f64 v[36:37], v[10:11], s[18:19]
	v_add_f64 v[46:47], v[4:5], v[28:29]
	v_fma_f64 v[28:29], v[30:31], s[24:25], -v[8:9]
	v_fma_f64 v[14:15], v[14:15], s[2:3], -v[50:51]
	;; [unrolled: 1-line block ×3, first 2 shown]
	v_fma_f64 v[44:45], s[28:29], v[30:31], v[36:37]
	v_fmac_f64_e32 v[28:29], s[22:23], v[46:47]
	v_add_f64 v[30:31], v[14:15], v[42:43]
	v_fmac_f64_e32 v[20:21], s[22:23], v[26:27]
	v_add_f64 v[8:9], v[38:39], -v[28:29]
	v_add_f64 v[14:15], v[30:31], -v[20:21]
	v_fma_f64 v[22:23], v[18:19], s[0:1], -v[36:37]
	v_add_f64 v[18:19], v[20:21], v[30:31]
	v_add_f64 v[20:21], v[28:29], v[38:39]
	s_movk_i32 s0, 0xb6
	v_accvgpr_read_b32 v28, a50
	v_accvgpr_read_b32 v29, a51
	v_fma_f64 v[6:7], s[16:17], v[6:7], v[48:49]
	v_fma_f64 v[16:17], v[16:17], s[2:3], -v[40:41]
	v_mad_legacy_u16 v28, v28, s0, v29
	v_fmac_f64_e32 v[24:25], s[22:23], v[26:27]
	v_add_f64 v[52:53], v[6:7], v[42:43]
	v_fmac_f64_e32 v[44:45], s[22:23], v[46:47]
	v_fmac_f64_e32 v[58:59], s[22:23], v[26:27]
	v_add_f64 v[16:17], v[16:17], v[12:13]
	v_fmac_f64_e32 v[22:23], s[22:23], v[46:47]
	v_lshlrev_b32_e32 v28, 4, v28
	v_add_f64 v[6:7], v[24:25], v[52:53]
	v_add_f64 v[4:5], v[56:57], -v[44:45]
	v_add_f64 v[10:11], v[58:59], v[32:33]
	v_add_f64 v[12:13], v[22:23], v[16:17]
	v_add_f64 v[16:17], v[16:17], -v[22:23]
	v_add_f64 v[22:23], v[32:33], -v[58:59]
	;; [unrolled: 1-line block ×3, first 2 shown]
	v_add_f64 v[24:25], v[44:45], v[56:57]
	ds_write_b128 v28, v[0:3]
	ds_write_b128 v28, v[24:27] offset:416
	ds_write_b128 v28, v[20:23] offset:832
	;; [unrolled: 1-line block ×6, first 2 shown]
.LBB0_29:
	s_or_b64 exec, exec, s[30:31]
	s_waitcnt lgkmcnt(0)
	s_barrier
	ds_read_b128 v[44:47], v236
	ds_read_b128 v[0:3], v236 offset:2912
	ds_read_b128 v[4:7], v236 offset:5824
	;; [unrolled: 1-line block ×10, first 2 shown]
	s_waitcnt lgkmcnt(9)
	v_mul_f64 v[54:55], v[150:151], v[2:3]
	v_fmac_f64_e32 v[54:55], v[148:149], v[0:1]
	v_mul_f64 v[0:1], v[150:151], v[0:1]
	v_fma_f64 v[56:57], v[148:149], v[2:3], -v[0:1]
	s_waitcnt lgkmcnt(8)
	v_mul_f64 v[0:1], v[146:147], v[4:5]
	v_fma_f64 v[60:61], v[144:145], v[6:7], -v[0:1]
	s_waitcnt lgkmcnt(7)
	;; [unrolled: 3-line block ×3, first 2 shown]
	v_mul_f64 v[0:1], v[138:139], v[12:13]
	s_waitcnt lgkmcnt(5)
	v_mul_f64 v[2:3], v[166:167], v[16:17]
	v_mul_f64 v[62:63], v[142:143], v[10:11]
	v_fma_f64 v[10:11], v[136:137], v[14:15], -v[0:1]
	v_mul_f64 v[0:1], v[166:167], v[18:19]
	v_fma_f64 v[2:3], v[164:165], v[18:19], -v[2:3]
	s_waitcnt lgkmcnt(2)
	v_mul_f64 v[18:19], v[154:155], v[28:29]
	v_mul_f64 v[58:59], v[146:147], v[6:7]
	v_fmac_f64_e32 v[0:1], v[164:165], v[16:17]
	v_mul_f64 v[16:17], v[154:155], v[30:31]
	v_fma_f64 v[18:19], v[152:153], v[30:31], -v[18:19]
	v_add_f64 v[30:31], v[46:47], v[56:57]
	v_fmac_f64_e32 v[58:59], v[144:145], v[4:5]
	v_fmac_f64_e32 v[16:17], v[152:153], v[28:29]
	v_add_f64 v[28:29], v[44:45], v[54:55]
	v_add_f64 v[30:31], v[30:31], v[60:61]
	v_fmac_f64_e32 v[62:63], v[140:141], v[8:9]
	v_mul_f64 v[8:9], v[138:139], v[14:15]
	v_add_f64 v[28:29], v[28:29], v[58:59]
	v_add_f64 v[30:31], v[30:31], v[64:65]
	v_fmac_f64_e32 v[8:9], v[136:137], v[12:13]
	v_mul_f64 v[6:7], v[162:163], v[20:21]
	v_add_f64 v[28:29], v[28:29], v[62:63]
	v_add_f64 v[30:31], v[30:31], v[10:11]
	v_mul_f64 v[4:5], v[162:163], v[22:23]
	v_fma_f64 v[6:7], v[160:161], v[22:23], -v[6:7]
	v_mul_f64 v[14:15], v[158:159], v[24:25]
	v_add_f64 v[28:29], v[28:29], v[8:9]
	v_add_f64 v[30:31], v[30:31], v[2:3]
	v_fmac_f64_e32 v[4:5], v[160:161], v[20:21]
	v_mul_f64 v[12:13], v[158:159], v[26:27]
	v_fma_f64 v[14:15], v[156:157], v[26:27], -v[14:15]
	v_add_f64 v[28:29], v[28:29], v[0:1]
	v_add_f64 v[30:31], v[30:31], v[6:7]
	v_fmac_f64_e32 v[12:13], v[156:157], v[24:25]
	s_waitcnt lgkmcnt(1)
	v_mul_f64 v[22:23], v[174:175], v[32:33]
	v_add_f64 v[28:29], v[28:29], v[4:5]
	v_add_f64 v[30:31], v[30:31], v[14:15]
	v_accvgpr_read_b32 v90, a32
	v_mul_f64 v[20:21], v[174:175], v[34:35]
	v_fma_f64 v[22:23], v[172:173], v[34:35], -v[22:23]
	s_waitcnt lgkmcnt(0)
	v_mul_f64 v[26:27], v[170:171], v[36:37]
	v_add_f64 v[28:29], v[28:29], v[12:13]
	v_add_f64 v[30:31], v[30:31], v[18:19]
	v_mad_u64_u32 v[50:51], s[0:1], s10, v90, 0
	v_fmac_f64_e32 v[20:21], v[172:173], v[32:33]
	v_mul_f64 v[24:25], v[170:171], v[38:39]
	v_fma_f64 v[26:27], v[168:169], v[38:39], -v[26:27]
	v_add_f64 v[28:29], v[28:29], v[16:17]
	v_add_f64 v[30:31], v[30:31], v[22:23]
	s_mov_b32 s18, 0x8764f0ba
	s_mov_b32 s4, 0xd9c712b6
	;; [unrolled: 1-line block ×5, first 2 shown]
	v_fmac_f64_e32 v[24:25], v[168:169], v[36:37]
	v_add_f64 v[28:29], v[28:29], v[20:21]
	v_add_f64 v[42:43], v[30:31], v[26:27]
	;; [unrolled: 1-line block ×3, first 2 shown]
	s_mov_b32 s16, 0xf8bb580b
	s_mov_b32 s19, 0x3feaeb8c
	;; [unrolled: 1-line block ×10, first 2 shown]
	v_add_f64 v[40:41], v[28:29], v[24:25]
	v_add_f64 v[28:29], v[54:55], v[24:25]
	v_add_f64 v[24:25], v[54:55], -v[24:25]
	v_add_f64 v[26:27], v[56:57], -v[26:27]
	s_mov_b32 s17, 0xbfe14ced
	v_mul_f64 v[36:37], v[30:31], s[18:19]
	s_mov_b32 s3, 0xbfed1bb4
	v_mul_f64 v[66:67], v[30:31], s[4:5]
	s_mov_b32 s1, 0xbfefac9e
	v_mul_f64 v[74:75], v[30:31], s[14:15]
	s_mov_b32 s25, 0xbfe82f19
	v_mul_f64 v[82:83], v[30:31], s[26:27]
	s_mov_b32 s31, 0xbfd207e7
	v_mul_f64 v[30:31], v[30:31], s[34:35]
	s_mov_b32 s37, 0x3fd207e7
	s_mov_b32 s36, s30
	v_mov_b32_e32 v48, s12
	v_mov_b32_e32 v49, s13
	v_mul_f64 v[32:33], v[26:27], s[16:17]
	s_mov_b32 s21, 0x3fe14ced
	s_mov_b32 s20, s16
	v_mul_f64 v[54:55], v[26:27], s[2:3]
	s_mov_b32 s13, 0x3fed1bb4
	s_mov_b32 s12, s2
	;; [unrolled: 3-line block ×4, first 2 shown]
	v_mul_f64 v[26:27], v[26:27], s[30:31]
	v_fma_f64 v[88:89], s[36:37], v[24:25], v[30:31]
	v_fmac_f64_e32 v[30:31], s[30:31], v[24:25]
	v_fma_f64 v[34:35], s[18:19], v[28:29], v[32:33]
	v_fma_f64 v[38:39], s[20:21], v[24:25], v[36:37]
	v_fma_f64 v[32:33], v[28:29], s[18:19], -v[32:33]
	v_fmac_f64_e32 v[36:37], s[16:17], v[24:25]
	v_fma_f64 v[56:57], s[4:5], v[28:29], v[54:55]
	v_fma_f64 v[68:69], s[12:13], v[24:25], v[66:67]
	v_fma_f64 v[54:55], v[28:29], s[4:5], -v[54:55]
	;; [unrolled: 4-line block ×4, first 2 shown]
	v_fmac_f64_e32 v[82:83], s[24:25], v[24:25]
	v_fma_f64 v[86:87], s[34:35], v[28:29], v[26:27]
	v_fma_f64 v[26:27], v[28:29], s[34:35], -v[26:27]
	v_add_f64 v[24:25], v[46:47], v[30:31]
	v_add_f64 v[30:31], v[60:61], v[22:23]
	v_add_f64 v[22:23], v[60:61], -v[22:23]
	v_add_f64 v[34:35], v[44:45], v[34:35]
	v_add_f64 v[32:33], v[44:45], v[32:33]
	;; [unrolled: 1-line block ×11, first 2 shown]
	v_mul_f64 v[44:45], v[22:23], s[2:3]
	v_add_f64 v[38:39], v[46:47], v[38:39]
	v_add_f64 v[36:37], v[46:47], v[36:37]
	;; [unrolled: 1-line block ×9, first 2 shown]
	v_fma_f64 v[46:47], s[4:5], v[28:29], v[44:45]
	v_add_f64 v[20:21], v[58:59], -v[20:21]
	v_add_f64 v[34:35], v[46:47], v[34:35]
	v_mul_f64 v[46:47], v[30:31], s[4:5]
	v_fma_f64 v[44:45], v[28:29], s[4:5], -v[44:45]
	v_fma_f64 v[58:59], s[12:13], v[20:21], v[46:47]
	v_add_f64 v[32:33], v[44:45], v[32:33]
	v_fmac_f64_e32 v[46:47], s[2:3], v[20:21]
	v_mul_f64 v[44:45], v[22:23], s[24:25]
	v_add_f64 v[36:37], v[46:47], v[36:37]
	v_fma_f64 v[46:47], s[26:27], v[28:29], v[44:45]
	v_add_f64 v[46:47], v[46:47], v[56:57]
	v_mul_f64 v[56:57], v[30:31], s[26:27]
	v_add_f64 v[38:39], v[58:59], v[38:39]
	v_fma_f64 v[58:59], s[28:29], v[20:21], v[56:57]
	v_fma_f64 v[44:45], v[28:29], s[26:27], -v[44:45]
	v_fmac_f64_e32 v[56:57], s[24:25], v[20:21]
	v_add_f64 v[44:45], v[44:45], v[54:55]
	v_add_f64 v[54:55], v[56:57], v[66:67]
	v_mul_f64 v[56:57], v[22:23], s[36:37]
	v_fma_f64 v[60:61], s[34:35], v[28:29], v[56:57]
	v_fma_f64 v[56:57], v[28:29], s[34:35], -v[56:57]
	v_mul_f64 v[66:67], v[30:31], s[34:35]
	v_add_f64 v[56:57], v[56:57], v[70:71]
	v_mul_f64 v[70:71], v[22:23], s[22:23]
	v_add_f64 v[58:59], v[58:59], v[68:69]
	v_add_f64 v[60:61], v[60:61], v[72:73]
	v_fma_f64 v[68:69], s[30:31], v[20:21], v[66:67]
	v_fmac_f64_e32 v[66:67], s[36:37], v[20:21]
	v_fma_f64 v[72:73], s[14:15], v[28:29], v[70:71]
	v_fma_f64 v[70:71], v[28:29], s[14:15], -v[70:71]
	v_mul_f64 v[22:23], v[22:23], s[20:21]
	v_add_f64 v[66:67], v[66:67], v[74:75]
	v_mul_f64 v[74:75], v[30:31], s[14:15]
	v_add_f64 v[70:71], v[70:71], v[78:79]
	v_fma_f64 v[78:79], s[18:19], v[28:29], v[22:23]
	v_mul_f64 v[30:31], v[30:31], s[18:19]
	v_fma_f64 v[22:23], v[28:29], s[18:19], -v[22:23]
	v_add_f64 v[72:73], v[72:73], v[80:81]
	v_fma_f64 v[80:81], s[16:17], v[20:21], v[30:31]
	v_add_f64 v[22:23], v[22:23], v[26:27]
	v_fmac_f64_e32 v[30:31], s[20:21], v[20:21]
	v_add_f64 v[26:27], v[64:65], v[18:19]
	v_add_f64 v[18:19], v[64:65], -v[18:19]
	v_add_f64 v[68:69], v[68:69], v[76:77]
	v_fma_f64 v[76:77], s[0:1], v[20:21], v[74:75]
	v_fmac_f64_e32 v[74:75], s[22:23], v[20:21]
	v_add_f64 v[20:21], v[30:31], v[24:25]
	v_add_f64 v[24:25], v[62:63], v[16:17]
	v_mul_f64 v[28:29], v[18:19], s[0:1]
	v_fma_f64 v[30:31], s[14:15], v[24:25], v[28:29]
	v_add_f64 v[16:17], v[62:63], -v[16:17]
	v_add_f64 v[30:31], v[30:31], v[34:35]
	v_mul_f64 v[34:35], v[26:27], s[14:15]
	v_fma_f64 v[62:63], s[22:23], v[16:17], v[34:35]
	v_fma_f64 v[28:29], v[24:25], s[14:15], -v[28:29]
	v_fmac_f64_e32 v[34:35], s[0:1], v[16:17]
	v_add_f64 v[28:29], v[28:29], v[32:33]
	v_add_f64 v[32:33], v[34:35], v[36:37]
	v_mul_f64 v[34:35], v[18:19], s[36:37]
	v_fma_f64 v[36:37], s[34:35], v[24:25], v[34:35]
	v_add_f64 v[36:37], v[36:37], v[46:47]
	v_mul_f64 v[46:47], v[26:27], s[34:35]
	v_add_f64 v[38:39], v[62:63], v[38:39]
	v_fma_f64 v[62:63], s[30:31], v[16:17], v[46:47]
	v_fma_f64 v[34:35], v[24:25], s[34:35], -v[34:35]
	v_fmac_f64_e32 v[46:47], s[36:37], v[16:17]
	v_add_f64 v[34:35], v[34:35], v[44:45]
	v_add_f64 v[44:45], v[46:47], v[54:55]
	v_mul_f64 v[46:47], v[18:19], s[12:13]
	v_fma_f64 v[54:55], s[4:5], v[24:25], v[46:47]
	v_add_f64 v[54:55], v[54:55], v[60:61]
	v_mul_f64 v[60:61], v[26:27], s[4:5]
	v_add_f64 v[58:59], v[62:63], v[58:59]
	v_fma_f64 v[62:63], s[2:3], v[16:17], v[60:61]
	v_fma_f64 v[46:47], v[24:25], s[4:5], -v[46:47]
	v_fmac_f64_e32 v[60:61], s[12:13], v[16:17]
	v_add_f64 v[46:47], v[46:47], v[56:57]
	v_add_f64 v[56:57], v[60:61], v[66:67]
	v_mul_f64 v[60:61], v[18:19], s[16:17]
	v_fma_f64 v[64:65], s[18:19], v[24:25], v[60:61]
	v_fma_f64 v[60:61], v[24:25], s[18:19], -v[60:61]
	v_mul_f64 v[18:19], v[18:19], s[24:25]
	v_mul_f64 v[66:67], v[26:27], s[18:19]
	v_add_f64 v[60:61], v[60:61], v[70:71]
	v_fma_f64 v[70:71], s[26:27], v[24:25], v[18:19]
	v_mul_f64 v[26:27], v[26:27], s[26:27]
	v_fma_f64 v[18:19], v[24:25], s[26:27], -v[18:19]
	v_add_f64 v[64:65], v[64:65], v[72:73]
	v_fma_f64 v[72:73], s[28:29], v[16:17], v[26:27]
	v_add_f64 v[18:19], v[18:19], v[22:23]
	v_fmac_f64_e32 v[26:27], s[24:25], v[16:17]
	v_add_f64 v[22:23], v[10:11], v[14:15]
	v_add_f64 v[10:11], v[10:11], -v[14:15]
	v_add_f64 v[62:63], v[62:63], v[68:69]
	v_fma_f64 v[68:69], s[20:21], v[16:17], v[66:67]
	v_fmac_f64_e32 v[66:67], s[16:17], v[16:17]
	v_add_f64 v[16:17], v[26:27], v[20:21]
	v_add_f64 v[20:21], v[8:9], v[12:13]
	v_add_f64 v[8:9], v[8:9], -v[12:13]
	v_mul_f64 v[12:13], v[10:11], s[24:25]
	v_fma_f64 v[14:15], s[26:27], v[20:21], v[12:13]
	v_mul_f64 v[24:25], v[22:23], s[26:27]
	v_fma_f64 v[12:13], v[20:21], s[26:27], -v[12:13]
	v_fma_f64 v[26:27], s[28:29], v[8:9], v[24:25]
	v_add_f64 v[12:13], v[12:13], v[28:29]
	v_fmac_f64_e32 v[24:25], s[24:25], v[8:9]
	v_mul_f64 v[28:29], v[10:11], s[22:23]
	v_add_f64 v[14:15], v[14:15], v[30:31]
	v_add_f64 v[24:25], v[24:25], v[32:33]
	v_fma_f64 v[30:31], s[14:15], v[20:21], v[28:29]
	v_mul_f64 v[32:33], v[22:23], s[14:15]
	v_fma_f64 v[28:29], v[20:21], s[14:15], -v[28:29]
	v_add_f64 v[30:31], v[30:31], v[36:37]
	v_fma_f64 v[36:37], s[0:1], v[8:9], v[32:33]
	v_add_f64 v[28:29], v[28:29], v[34:35]
	v_fmac_f64_e32 v[32:33], s[22:23], v[8:9]
	v_mul_f64 v[34:35], v[10:11], s[16:17]
	v_add_f64 v[26:27], v[26:27], v[38:39]
	v_add_f64 v[32:33], v[32:33], v[44:45]
	v_fma_f64 v[38:39], s[18:19], v[20:21], v[34:35]
	v_mul_f64 v[44:45], v[22:23], s[18:19]
	v_fma_f64 v[34:35], v[20:21], s[18:19], -v[34:35]
	v_add_f64 v[38:39], v[38:39], v[54:55]
	v_fma_f64 v[54:55], s[20:21], v[8:9], v[44:45]
	v_add_f64 v[34:35], v[34:35], v[46:47]
	v_fmac_f64_e32 v[44:45], s[16:17], v[8:9]
	v_mul_f64 v[46:47], v[10:11], s[30:31]
	v_add_f64 v[76:77], v[76:77], v[84:85]
	v_add_f64 v[78:79], v[78:79], v[86:87]
	;; [unrolled: 1-line block ×3, first 2 shown]
	v_fma_f64 v[56:57], s[34:35], v[20:21], v[46:47]
	v_fma_f64 v[46:47], v[20:21], s[34:35], -v[46:47]
	v_mul_f64 v[10:11], v[10:11], s[12:13]
	v_add_f64 v[74:75], v[74:75], v[82:83]
	v_add_f64 v[80:81], v[80:81], v[88:89]
	;; [unrolled: 1-line block ×5, first 2 shown]
	v_mul_f64 v[58:59], v[22:23], s[34:35]
	v_add_f64 v[46:47], v[46:47], v[60:61]
	v_fma_f64 v[60:61], s[4:5], v[20:21], v[10:11]
	v_mul_f64 v[22:23], v[22:23], s[4:5]
	v_add_f64 v[76:77], v[2:3], -v[6:7]
	v_add_f64 v[66:67], v[66:67], v[74:75]
	v_add_f64 v[72:73], v[72:73], v[80:81]
	;; [unrolled: 1-line block ×4, first 2 shown]
	v_fma_f64 v[64:65], s[2:3], v[8:9], v[22:23]
	v_add_f64 v[70:71], v[0:1], v[4:5]
	v_add_f64 v[74:75], v[0:1], -v[4:5]
	v_mul_f64 v[4:5], v[76:77], s[30:31]
	v_add_f64 v[64:65], v[64:65], v[72:73]
	v_add_f64 v[72:73], v[2:3], v[6:7]
	v_fma_f64 v[0:1], s[34:35], v[70:71], v[4:5]
	v_fma_f64 v[4:5], v[70:71], s[34:35], -v[4:5]
	v_add_f64 v[54:55], v[54:55], v[62:63]
	v_fma_f64 v[62:63], s[36:37], v[8:9], v[58:59]
	v_fmac_f64_e32 v[58:59], s[30:31], v[8:9]
	v_fma_f64 v[10:11], v[20:21], s[4:5], -v[10:11]
	v_fmac_f64_e32 v[22:23], s[12:13], v[8:9]
	v_add_f64 v[0:1], v[0:1], v[14:15]
	v_add_f64 v[4:5], v[4:5], v[12:13]
	v_mul_f64 v[12:13], v[76:77], s[20:21]
	v_mul_f64 v[14:15], v[72:73], s[18:19]
	v_mul_f64 v[20:21], v[76:77], s[24:25]
	v_add_f64 v[62:63], v[62:63], v[68:69]
	v_add_f64 v[58:59], v[58:59], v[66:67]
	;; [unrolled: 1-line block ×4, first 2 shown]
	v_mul_f64 v[6:7], v[72:73], s[34:35]
	v_fma_f64 v[8:9], s[18:19], v[70:71], v[12:13]
	v_fma_f64 v[10:11], s[16:17], v[74:75], v[14:15]
	v_fma_f64 v[12:13], v[70:71], s[18:19], -v[12:13]
	v_fma_f64 v[16:17], s[26:27], v[70:71], v[20:21]
	v_fma_f64 v[2:3], s[36:37], v[74:75], v[6:7]
	v_fmac_f64_e32 v[6:7], s[30:31], v[74:75]
	v_add_f64 v[8:9], v[8:9], v[30:31]
	v_add_f64 v[10:11], v[10:11], v[36:37]
	;; [unrolled: 1-line block ×3, first 2 shown]
	v_fmac_f64_e32 v[14:15], s[20:21], v[74:75]
	v_add_f64 v[16:17], v[16:17], v[38:39]
	v_mul_f64 v[22:23], v[72:73], s[26:27]
	v_fma_f64 v[20:21], v[70:71], s[26:27], -v[20:21]
	v_mul_f64 v[28:29], v[76:77], s[12:13]
	v_mul_f64 v[30:31], v[72:73], s[4:5]
	;; [unrolled: 1-line block ×4, first 2 shown]
	v_add_f64 v[2:3], v[2:3], v[26:27]
	v_add_f64 v[6:7], v[6:7], v[24:25]
	;; [unrolled: 1-line block ×3, first 2 shown]
	v_fma_f64 v[18:19], s[28:29], v[74:75], v[22:23]
	v_add_f64 v[20:21], v[20:21], v[34:35]
	v_fmac_f64_e32 v[22:23], s[24:25], v[74:75]
	v_fma_f64 v[24:25], s[4:5], v[70:71], v[28:29]
	v_fma_f64 v[26:27], s[2:3], v[74:75], v[30:31]
	v_fma_f64 v[28:29], v[70:71], s[4:5], -v[28:29]
	v_fmac_f64_e32 v[30:31], s[12:13], v[74:75]
	v_fma_f64 v[32:33], s[14:15], v[70:71], v[36:37]
	v_fma_f64 v[34:35], s[22:23], v[74:75], v[38:39]
	v_fma_f64 v[36:37], v[70:71], s[14:15], -v[36:37]
	v_fmac_f64_e32 v[38:39], s[0:1], v[74:75]
	v_add_f64 v[18:19], v[18:19], v[54:55]
	v_add_f64 v[22:23], v[22:23], v[44:45]
	;; [unrolled: 1-line block ×10, first 2 shown]
	ds_write_b128 v236, v[40:43]
	ds_write_b128 v236, v[0:3] offset:2912
	ds_write_b128 v236, v[8:11] offset:5824
	;; [unrolled: 1-line block ×10, first 2 shown]
	s_waitcnt lgkmcnt(0)
	s_barrier
	ds_read_b128 v[0:3], v236
	v_mov_b32_e32 v52, v51
	v_accvgpr_read_b32 v10, a42
	v_mad_u64_u32 v[4:5], s[0:1], s11, v90, v[52:53]
	v_accvgpr_read_b32 v12, a44
	v_accvgpr_read_b32 v13, a45
	v_mov_b32_e32 v51, v4
	ds_read_b128 v[4:7], v236 offset:2912
	v_accvgpr_read_b32 v11, a43
	s_waitcnt lgkmcnt(1)
	v_mul_f64 v[8:9], v[12:13], v[2:3]
	v_fmac_f64_e32 v[8:9], v[10:11], v[0:1]
	v_mul_f64 v[0:1], v[12:13], v[0:1]
	s_mov_b32 s0, 0x27a3ee9c
	v_fma_f64 v[0:1], v[10:11], v[2:3], -v[0:1]
	v_accvgpr_read_b32 v2, a10
	s_mov_b32 s1, 0x3f405e1d
	v_mad_u64_u32 v[12:13], s[2:3], s8, v2, 0
	v_mul_f64 v[10:11], v[0:1], s[0:1]
	v_mov_b32_e32 v0, v13
	v_mad_u64_u32 v[0:1], s[2:3], s9, v2, v[0:1]
	v_mov_b32_e32 v13, v0
	ds_read_b128 v[0:3], v236 offset:16016
	v_lshl_add_u64 v[14:15], v[50:51], 4, v[48:49]
	v_accvgpr_read_b32 v21, a5
	v_mul_f64 v[8:9], v[8:9], s[0:1]
	v_lshl_add_u64 v[16:17], v[12:13], 4, v[14:15]
	v_accvgpr_read_b32 v20, a4
	global_store_dwordx4 v[16:17], v[8:11], off
	ds_read_b128 v[8:11], v236 offset:11648
	v_accvgpr_read_b32 v19, a3
	v_accvgpr_read_b32 v18, a2
	s_waitcnt lgkmcnt(1)
	v_mul_f64 v[12:13], v[20:21], v[2:3]
	s_mul_i32 s2, s9, 0x3e9
	s_mul_hi_u32 s3, s8, 0x3e9
	v_fmac_f64_e32 v[12:13], v[18:19], v[0:1]
	v_mul_f64 v[0:1], v[20:21], v[0:1]
	s_add_i32 s3, s3, s2
	s_mul_i32 s2, s8, 0x3e9
	v_fma_f64 v[0:1], v[18:19], v[2:3], -v[0:1]
	s_lshl_b64 s[10:11], s[2:3], 4
	v_mul_f64 v[12:13], v[12:13], s[0:1]
	v_mul_f64 v[14:15], v[0:1], s[0:1]
	v_lshl_add_u64 v[16:17], v[16:17], 0, s[10:11]
	global_store_dwordx4 v[16:17], v[12:15], off
	s_mul_hi_u32 s5, s8, 0xfffffccd
	s_mul_i32 s4, s9, 0xfffffccd
	v_accvgpr_read_b32 v15, a9
	v_accvgpr_read_b32 v14, a8
	;; [unrolled: 1-line block ×4, first 2 shown]
	v_mul_f64 v[0:1], v[14:15], v[6:7]
	v_mul_f64 v[2:3], v[14:15], v[4:5]
	v_fmac_f64_e32 v[0:1], v[12:13], v[4:5]
	v_fma_f64 v[2:3], v[12:13], v[6:7], -v[2:3]
	ds_read_b128 v[4:7], v236 offset:18928
	s_sub_i32 s5, s5, s8
	s_add_i32 s5, s5, s4
	s_mul_i32 s4, s8, 0xfffffccd
	s_lshl_b64 s[8:9], s[4:5], 4
	v_accvgpr_read_b32 v21, a15
	v_mul_f64 v[0:1], v[0:1], s[0:1]
	v_mul_f64 v[2:3], v[2:3], s[0:1]
	v_lshl_add_u64 v[16:17], v[16:17], 0, s[8:9]
	v_accvgpr_read_b32 v20, a14
	global_store_dwordx4 v[16:17], v[0:3], off
	ds_read_b128 v[0:3], v236 offset:21840
	v_accvgpr_read_b32 v19, a13
	v_accvgpr_read_b32 v18, a12
	s_waitcnt lgkmcnt(1)
	v_mul_f64 v[12:13], v[20:21], v[6:7]
	v_fmac_f64_e32 v[12:13], v[18:19], v[4:5]
	v_mul_f64 v[4:5], v[20:21], v[4:5]
	v_fma_f64 v[14:15], v[18:19], v[6:7], -v[4:5]
	ds_read_b128 v[4:7], v236 offset:5824
	v_accvgpr_read_b32 v25, a19
	v_mul_f64 v[12:13], v[12:13], s[0:1]
	v_mul_f64 v[14:15], v[14:15], s[0:1]
	v_lshl_add_u64 v[20:21], v[16:17], 0, s[10:11]
	v_accvgpr_read_b32 v24, a18
	global_store_dwordx4 v[20:21], v[12:15], off
	ds_read_b128 v[12:15], v236 offset:8736
	v_accvgpr_read_b32 v23, a17
	v_accvgpr_read_b32 v22, a16
	s_waitcnt lgkmcnt(1)
	v_mul_f64 v[16:17], v[24:25], v[6:7]
	v_fmac_f64_e32 v[16:17], v[22:23], v[4:5]
	v_mul_f64 v[4:5], v[24:25], v[4:5]
	v_fma_f64 v[4:5], v[22:23], v[6:7], -v[4:5]
	v_mul_f64 v[16:17], v[16:17], s[0:1]
	v_mul_f64 v[18:19], v[4:5], s[0:1]
	v_lshl_add_u64 v[20:21], v[20:21], 0, s[8:9]
	global_store_dwordx4 v[20:21], v[16:19], off
	s_nop 1
	v_accvgpr_read_b32 v16, a20
	v_accvgpr_read_b32 v18, a22
	;; [unrolled: 1-line block ×4, first 2 shown]
	v_mul_f64 v[4:5], v[18:19], v[2:3]
	v_fmac_f64_e32 v[4:5], v[16:17], v[0:1]
	v_mul_f64 v[0:1], v[18:19], v[0:1]
	v_fma_f64 v[0:1], v[16:17], v[2:3], -v[0:1]
	v_mul_f64 v[4:5], v[4:5], s[0:1]
	v_mul_f64 v[6:7], v[0:1], s[0:1]
	v_lshl_add_u64 v[16:17], v[20:21], 0, s[10:11]
	global_store_dwordx4 v[16:17], v[4:7], off
	v_accvgpr_read_b32 v18, a28
	v_lshl_add_u64 v[16:17], v[16:17], 0, s[8:9]
	v_accvgpr_read_b32 v4, a24
	v_accvgpr_read_b32 v6, a26
	;; [unrolled: 1-line block ×4, first 2 shown]
	s_waitcnt lgkmcnt(0)
	v_mul_f64 v[0:1], v[6:7], v[14:15]
	v_mul_f64 v[2:3], v[6:7], v[12:13]
	v_fmac_f64_e32 v[0:1], v[4:5], v[12:13]
	v_fma_f64 v[2:3], v[4:5], v[14:15], -v[2:3]
	ds_read_b128 v[4:7], v236 offset:24752
	v_mul_f64 v[0:1], v[0:1], s[0:1]
	v_mul_f64 v[2:3], v[2:3], s[0:1]
	v_accvgpr_read_b32 v20, a30
	v_accvgpr_read_b32 v21, a31
	global_store_dwordx4 v[16:17], v[0:3], off
	ds_read_b128 v[0:3], v236 offset:27664
	v_accvgpr_read_b32 v19, a29
	s_waitcnt lgkmcnt(1)
	v_mul_f64 v[12:13], v[20:21], v[6:7]
	v_fmac_f64_e32 v[12:13], v[18:19], v[4:5]
	v_mul_f64 v[4:5], v[20:21], v[4:5]
	v_fma_f64 v[4:5], v[18:19], v[6:7], -v[4:5]
	v_mul_f64 v[12:13], v[12:13], s[0:1]
	v_mul_f64 v[14:15], v[4:5], s[0:1]
	v_lshl_add_u64 v[16:17], v[16:17], 0, s[10:11]
	global_store_dwordx4 v[16:17], v[12:15], off
	s_nop 1
	v_accvgpr_read_b32 v12, a34
	v_accvgpr_read_b32 v14, a36
	;; [unrolled: 1-line block ×4, first 2 shown]
	v_mul_f64 v[4:5], v[14:15], v[10:11]
	v_mul_f64 v[6:7], v[14:15], v[8:9]
	v_fmac_f64_e32 v[4:5], v[12:13], v[8:9]
	v_fma_f64 v[6:7], v[12:13], v[10:11], -v[6:7]
	v_accvgpr_read_b32 v10, a38
	v_mul_f64 v[4:5], v[4:5], s[0:1]
	v_mul_f64 v[6:7], v[6:7], s[0:1]
	v_lshl_add_u64 v[8:9], v[16:17], 0, s[8:9]
	v_accvgpr_read_b32 v12, a40
	v_accvgpr_read_b32 v13, a41
	global_store_dwordx4 v[8:9], v[4:7], off
	v_accvgpr_read_b32 v11, a39
	s_waitcnt lgkmcnt(0)
	v_mul_f64 v[4:5], v[12:13], v[2:3]
	v_fmac_f64_e32 v[4:5], v[10:11], v[0:1]
	v_mul_f64 v[0:1], v[12:13], v[0:1]
	v_fma_f64 v[0:1], v[10:11], v[2:3], -v[0:1]
	v_mul_f64 v[4:5], v[4:5], s[0:1]
	v_mul_f64 v[6:7], v[0:1], s[0:1]
	v_lshl_add_u64 v[0:1], v[8:9], 0, s[10:11]
	global_store_dwordx4 v[0:1], v[4:7], off
	s_and_b64 exec, exec, s[6:7]
	s_cbranch_execz .LBB0_31
; %bb.30:
	v_accvgpr_read_b32 v7, a1
	v_accvgpr_read_b32 v6, a0
	v_add_co_u32_e32 v2, vcc, 0x3000, v6
	s_movk_i32 s6, 0x7000
	s_nop 0
	v_addc_co_u32_e32 v3, vcc, 0, v7, vcc
	v_add_co_u32_e32 v6, vcc, s6, v6
	global_load_dwordx4 v[2:5], v[2:3], off offset:2272
	s_nop 0
	v_addc_co_u32_e32 v7, vcc, 0, v7, vcc
	global_load_dwordx4 v[6:9], v[6:7], off offset:1904
	ds_read_b128 v[10:13], v236 offset:14560
	ds_read_b128 v[14:17], v236 offset:30576
	v_lshl_add_u64 v[18:19], s[4:5], 4, v[0:1]
	v_lshl_add_u64 v[20:21], s[2:3], 4, v[18:19]
	s_waitcnt vmcnt(1) lgkmcnt(1)
	v_mul_f64 v[0:1], v[12:13], v[4:5]
	v_mul_f64 v[4:5], v[10:11], v[4:5]
	v_fmac_f64_e32 v[0:1], v[10:11], v[2:3]
	s_waitcnt vmcnt(0) lgkmcnt(0)
	v_mul_f64 v[22:23], v[16:17], v[8:9]
	v_mul_f64 v[8:9], v[14:15], v[8:9]
	v_fma_f64 v[2:3], v[2:3], v[12:13], -v[4:5]
	v_fmac_f64_e32 v[22:23], v[14:15], v[6:7]
	v_fma_f64 v[6:7], v[6:7], v[16:17], -v[8:9]
	v_mul_f64 v[0:1], v[0:1], s[0:1]
	v_mul_f64 v[2:3], v[2:3], s[0:1]
	;; [unrolled: 1-line block ×4, first 2 shown]
	global_store_dwordx4 v[18:19], v[0:3], off
	global_store_dwordx4 v[20:21], v[4:7], off
.LBB0_31:
	s_endpgm
	.section	.rodata,"a",@progbits
	.p2align	6, 0x0
	.amdhsa_kernel bluestein_single_back_len2002_dim1_dp_op_CI_CI
		.amdhsa_group_segment_fixed_size 32032
		.amdhsa_private_segment_fixed_size 0
		.amdhsa_kernarg_size 104
		.amdhsa_user_sgpr_count 2
		.amdhsa_user_sgpr_dispatch_ptr 0
		.amdhsa_user_sgpr_queue_ptr 0
		.amdhsa_user_sgpr_kernarg_segment_ptr 1
		.amdhsa_user_sgpr_dispatch_id 0
		.amdhsa_user_sgpr_kernarg_preload_length 0
		.amdhsa_user_sgpr_kernarg_preload_offset 0
		.amdhsa_user_sgpr_private_segment_size 0
		.amdhsa_uses_dynamic_stack 0
		.amdhsa_enable_private_segment 0
		.amdhsa_system_sgpr_workgroup_id_x 1
		.amdhsa_system_sgpr_workgroup_id_y 0
		.amdhsa_system_sgpr_workgroup_id_z 0
		.amdhsa_system_sgpr_workgroup_info 0
		.amdhsa_system_vgpr_workitem_id 0
		.amdhsa_next_free_vgpr 394
		.amdhsa_next_free_sgpr 52
		.amdhsa_accum_offset 256
		.amdhsa_reserve_vcc 1
		.amdhsa_float_round_mode_32 0
		.amdhsa_float_round_mode_16_64 0
		.amdhsa_float_denorm_mode_32 3
		.amdhsa_float_denorm_mode_16_64 3
		.amdhsa_dx10_clamp 1
		.amdhsa_ieee_mode 1
		.amdhsa_fp16_overflow 0
		.amdhsa_tg_split 0
		.amdhsa_exception_fp_ieee_invalid_op 0
		.amdhsa_exception_fp_denorm_src 0
		.amdhsa_exception_fp_ieee_div_zero 0
		.amdhsa_exception_fp_ieee_overflow 0
		.amdhsa_exception_fp_ieee_underflow 0
		.amdhsa_exception_fp_ieee_inexact 0
		.amdhsa_exception_int_div_zero 0
	.end_amdhsa_kernel
	.text
.Lfunc_end0:
	.size	bluestein_single_back_len2002_dim1_dp_op_CI_CI, .Lfunc_end0-bluestein_single_back_len2002_dim1_dp_op_CI_CI
                                        ; -- End function
	.section	.AMDGPU.csdata,"",@progbits
; Kernel info:
; codeLenInByte = 26920
; NumSgprs: 58
; NumVgprs: 256
; NumAgprs: 138
; TotalNumVgprs: 394
; ScratchSize: 0
; MemoryBound: 0
; FloatMode: 240
; IeeeMode: 1
; LDSByteSize: 32032 bytes/workgroup (compile time only)
; SGPRBlocks: 7
; VGPRBlocks: 49
; NumSGPRsForWavesPerEU: 58
; NumVGPRsForWavesPerEU: 394
; AccumOffset: 256
; Occupancy: 1
; WaveLimiterHint : 1
; COMPUTE_PGM_RSRC2:SCRATCH_EN: 0
; COMPUTE_PGM_RSRC2:USER_SGPR: 2
; COMPUTE_PGM_RSRC2:TRAP_HANDLER: 0
; COMPUTE_PGM_RSRC2:TGID_X_EN: 1
; COMPUTE_PGM_RSRC2:TGID_Y_EN: 0
; COMPUTE_PGM_RSRC2:TGID_Z_EN: 0
; COMPUTE_PGM_RSRC2:TIDIG_COMP_CNT: 0
; COMPUTE_PGM_RSRC3_GFX90A:ACCUM_OFFSET: 63
; COMPUTE_PGM_RSRC3_GFX90A:TG_SPLIT: 0
	.text
	.p2alignl 6, 3212836864
	.fill 256, 4, 3212836864
	.type	__hip_cuid_dde35127b75f6b93,@object ; @__hip_cuid_dde35127b75f6b93
	.section	.bss,"aw",@nobits
	.globl	__hip_cuid_dde35127b75f6b93
__hip_cuid_dde35127b75f6b93:
	.byte	0                               ; 0x0
	.size	__hip_cuid_dde35127b75f6b93, 1

	.ident	"AMD clang version 19.0.0git (https://github.com/RadeonOpenCompute/llvm-project roc-6.4.0 25133 c7fe45cf4b819c5991fe208aaa96edf142730f1d)"
	.section	".note.GNU-stack","",@progbits
	.addrsig
	.addrsig_sym __hip_cuid_dde35127b75f6b93
	.amdgpu_metadata
---
amdhsa.kernels:
  - .agpr_count:     138
    .args:
      - .actual_access:  read_only
        .address_space:  global
        .offset:         0
        .size:           8
        .value_kind:     global_buffer
      - .actual_access:  read_only
        .address_space:  global
        .offset:         8
        .size:           8
        .value_kind:     global_buffer
      - .actual_access:  read_only
        .address_space:  global
        .offset:         16
        .size:           8
        .value_kind:     global_buffer
      - .actual_access:  read_only
        .address_space:  global
        .offset:         24
        .size:           8
        .value_kind:     global_buffer
      - .actual_access:  read_only
        .address_space:  global
        .offset:         32
        .size:           8
        .value_kind:     global_buffer
      - .offset:         40
        .size:           8
        .value_kind:     by_value
      - .address_space:  global
        .offset:         48
        .size:           8
        .value_kind:     global_buffer
      - .address_space:  global
        .offset:         56
        .size:           8
        .value_kind:     global_buffer
      - .address_space:  global
        .offset:         64
        .size:           8
        .value_kind:     global_buffer
      - .address_space:  global
        .offset:         72
        .size:           8
        .value_kind:     global_buffer
      - .offset:         80
        .size:           4
        .value_kind:     by_value
      - .address_space:  global
        .offset:         88
        .size:           8
        .value_kind:     global_buffer
      - .address_space:  global
        .offset:         96
        .size:           8
        .value_kind:     global_buffer
    .group_segment_fixed_size: 32032
    .kernarg_segment_align: 8
    .kernarg_segment_size: 104
    .language:       OpenCL C
    .language_version:
      - 2
      - 0
    .max_flat_workgroup_size: 182
    .name:           bluestein_single_back_len2002_dim1_dp_op_CI_CI
    .private_segment_fixed_size: 0
    .sgpr_count:     58
    .sgpr_spill_count: 0
    .symbol:         bluestein_single_back_len2002_dim1_dp_op_CI_CI.kd
    .uniform_work_group_size: 1
    .uses_dynamic_stack: false
    .vgpr_count:     394
    .vgpr_spill_count: 0
    .wavefront_size: 64
amdhsa.target:   amdgcn-amd-amdhsa--gfx950
amdhsa.version:
  - 1
  - 2
...

	.end_amdgpu_metadata
